;; amdgpu-corpus repo=ROCm/rocPRIM kind=compiled arch=gfx1100 opt=O3
	.text
	.amdgcn_target "amdgcn-amd-amdhsa--gfx1100"
	.amdhsa_code_object_version 6
	.section	.text._Z20warp_exchange_kernelILj256ELj1ELj16EN6common18BlockedToStripedOpEiEvPT3_j,"axG",@progbits,_Z20warp_exchange_kernelILj256ELj1ELj16EN6common18BlockedToStripedOpEiEvPT3_j,comdat
	.protected	_Z20warp_exchange_kernelILj256ELj1ELj16EN6common18BlockedToStripedOpEiEvPT3_j ; -- Begin function _Z20warp_exchange_kernelILj256ELj1ELj16EN6common18BlockedToStripedOpEiEvPT3_j
	.globl	_Z20warp_exchange_kernelILj256ELj1ELj16EN6common18BlockedToStripedOpEiEvPT3_j
	.p2align	8
	.type	_Z20warp_exchange_kernelILj256ELj1ELj16EN6common18BlockedToStripedOpEiEvPT3_j,@function
_Z20warp_exchange_kernelILj256ELj1ELj16EN6common18BlockedToStripedOpEiEvPT3_j: ; @_Z20warp_exchange_kernelILj256ELj1ELj16EN6common18BlockedToStripedOpEiEvPT3_j
; %bb.0:
	s_load_b32 s2, s[0:1], 0x8
	s_waitcnt lgkmcnt(0)
	s_cmp_eq_u32 s2, 0
	s_cbranch_scc1 .LBB0_3
; %bb.1:
	v_mbcnt_lo_u32_b32 v1, -1, 0
	v_lshlrev_b32_e32 v2, 2, v0
	s_delay_alu instid0(VALU_DEP_2) | instskip(NEXT) | instid1(VALU_DEP_1)
	v_and_b32_e32 v1, 15, v1
	v_lshlrev_b32_e32 v1, 2, v1
	s_delay_alu instid0(VALU_DEP_1)
	v_and_or_b32 v2, 0x3c0, v2, v1
	v_mov_b32_e32 v1, v0
.LBB0_2:                                ; =>This Inner Loop Header: Depth=1
	s_waitcnt lgkmcnt(0)
	ds_store_b32 v2, v1
	; wave barrier
	ds_load_b32 v1, v2
	s_add_i32 s2, s2, -1
	s_delay_alu instid0(SALU_CYCLE_1)
	s_cmp_lg_u32 s2, 0
	; wave barrier
	s_cbranch_scc1 .LBB0_2
	s_branch .LBB0_4
.LBB0_3:
	v_mov_b32_e32 v1, v0
.LBB0_4:
	s_load_b64 s[0:1], s[0:1], 0x0
	v_lshl_or_b32 v2, s15, 8, v0
	v_mov_b32_e32 v3, 0
	s_delay_alu instid0(VALU_DEP_1) | instskip(SKIP_1) | instid1(VALU_DEP_1)
	v_lshlrev_b64 v[2:3], 2, v[2:3]
	s_waitcnt lgkmcnt(0)
	v_add_co_u32 v2, vcc_lo, s0, v2
	s_delay_alu instid0(VALU_DEP_2)
	v_add_co_ci_u32_e32 v3, vcc_lo, s1, v3, vcc_lo
	global_store_b32 v[2:3], v1, off
	s_nop 0
	s_sendmsg sendmsg(MSG_DEALLOC_VGPRS)
	s_endpgm
	.section	.rodata,"a",@progbits
	.p2align	6, 0x0
	.amdhsa_kernel _Z20warp_exchange_kernelILj256ELj1ELj16EN6common18BlockedToStripedOpEiEvPT3_j
		.amdhsa_group_segment_fixed_size 1024
		.amdhsa_private_segment_fixed_size 0
		.amdhsa_kernarg_size 12
		.amdhsa_user_sgpr_count 15
		.amdhsa_user_sgpr_dispatch_ptr 0
		.amdhsa_user_sgpr_queue_ptr 0
		.amdhsa_user_sgpr_kernarg_segment_ptr 1
		.amdhsa_user_sgpr_dispatch_id 0
		.amdhsa_user_sgpr_private_segment_size 0
		.amdhsa_wavefront_size32 1
		.amdhsa_uses_dynamic_stack 0
		.amdhsa_enable_private_segment 0
		.amdhsa_system_sgpr_workgroup_id_x 1
		.amdhsa_system_sgpr_workgroup_id_y 0
		.amdhsa_system_sgpr_workgroup_id_z 0
		.amdhsa_system_sgpr_workgroup_info 0
		.amdhsa_system_vgpr_workitem_id 0
		.amdhsa_next_free_vgpr 4
		.amdhsa_next_free_sgpr 16
		.amdhsa_reserve_vcc 1
		.amdhsa_float_round_mode_32 0
		.amdhsa_float_round_mode_16_64 0
		.amdhsa_float_denorm_mode_32 3
		.amdhsa_float_denorm_mode_16_64 3
		.amdhsa_dx10_clamp 1
		.amdhsa_ieee_mode 1
		.amdhsa_fp16_overflow 0
		.amdhsa_workgroup_processor_mode 1
		.amdhsa_memory_ordered 1
		.amdhsa_forward_progress 0
		.amdhsa_shared_vgpr_count 0
		.amdhsa_exception_fp_ieee_invalid_op 0
		.amdhsa_exception_fp_denorm_src 0
		.amdhsa_exception_fp_ieee_div_zero 0
		.amdhsa_exception_fp_ieee_overflow 0
		.amdhsa_exception_fp_ieee_underflow 0
		.amdhsa_exception_fp_ieee_inexact 0
		.amdhsa_exception_int_div_zero 0
	.end_amdhsa_kernel
	.section	.text._Z20warp_exchange_kernelILj256ELj1ELj16EN6common18BlockedToStripedOpEiEvPT3_j,"axG",@progbits,_Z20warp_exchange_kernelILj256ELj1ELj16EN6common18BlockedToStripedOpEiEvPT3_j,comdat
.Lfunc_end0:
	.size	_Z20warp_exchange_kernelILj256ELj1ELj16EN6common18BlockedToStripedOpEiEvPT3_j, .Lfunc_end0-_Z20warp_exchange_kernelILj256ELj1ELj16EN6common18BlockedToStripedOpEiEvPT3_j
                                        ; -- End function
	.section	.AMDGPU.csdata,"",@progbits
; Kernel info:
; codeLenInByte = 180
; NumSgprs: 18
; NumVgprs: 4
; ScratchSize: 0
; MemoryBound: 0
; FloatMode: 240
; IeeeMode: 1
; LDSByteSize: 1024 bytes/workgroup (compile time only)
; SGPRBlocks: 2
; VGPRBlocks: 0
; NumSGPRsForWavesPerEU: 18
; NumVGPRsForWavesPerEU: 4
; Occupancy: 16
; WaveLimiterHint : 0
; COMPUTE_PGM_RSRC2:SCRATCH_EN: 0
; COMPUTE_PGM_RSRC2:USER_SGPR: 15
; COMPUTE_PGM_RSRC2:TRAP_HANDLER: 0
; COMPUTE_PGM_RSRC2:TGID_X_EN: 1
; COMPUTE_PGM_RSRC2:TGID_Y_EN: 0
; COMPUTE_PGM_RSRC2:TGID_Z_EN: 0
; COMPUTE_PGM_RSRC2:TIDIG_COMP_CNT: 0
	.section	.text._Z20warp_exchange_kernelILj256ELj1ELj32EN6common18BlockedToStripedOpEiEvPT3_j,"axG",@progbits,_Z20warp_exchange_kernelILj256ELj1ELj32EN6common18BlockedToStripedOpEiEvPT3_j,comdat
	.protected	_Z20warp_exchange_kernelILj256ELj1ELj32EN6common18BlockedToStripedOpEiEvPT3_j ; -- Begin function _Z20warp_exchange_kernelILj256ELj1ELj32EN6common18BlockedToStripedOpEiEvPT3_j
	.globl	_Z20warp_exchange_kernelILj256ELj1ELj32EN6common18BlockedToStripedOpEiEvPT3_j
	.p2align	8
	.type	_Z20warp_exchange_kernelILj256ELj1ELj32EN6common18BlockedToStripedOpEiEvPT3_j,@function
_Z20warp_exchange_kernelILj256ELj1ELj32EN6common18BlockedToStripedOpEiEvPT3_j: ; @_Z20warp_exchange_kernelILj256ELj1ELj32EN6common18BlockedToStripedOpEiEvPT3_j
; %bb.0:
	s_load_b32 s2, s[0:1], 0x8
	s_waitcnt lgkmcnt(0)
	s_cmp_eq_u32 s2, 0
	s_cbranch_scc1 .LBB1_3
; %bb.1:
	v_mbcnt_lo_u32_b32 v1, -1, 0
	v_lshlrev_b32_e32 v2, 2, v0
	s_delay_alu instid0(VALU_DEP_2) | instskip(NEXT) | instid1(VALU_DEP_1)
	v_lshlrev_b32_e32 v1, 2, v1
	v_and_or_b32 v2, 0x380, v2, v1
	v_mov_b32_e32 v1, v0
.LBB1_2:                                ; =>This Inner Loop Header: Depth=1
	s_waitcnt lgkmcnt(0)
	ds_store_b32 v2, v1
	; wave barrier
	ds_load_b32 v1, v2
	s_add_i32 s2, s2, -1
	s_delay_alu instid0(SALU_CYCLE_1)
	s_cmp_lg_u32 s2, 0
	; wave barrier
	s_cbranch_scc1 .LBB1_2
	s_branch .LBB1_4
.LBB1_3:
	v_mov_b32_e32 v1, v0
.LBB1_4:
	s_load_b64 s[0:1], s[0:1], 0x0
	v_lshl_or_b32 v2, s15, 8, v0
	v_mov_b32_e32 v3, 0
	s_delay_alu instid0(VALU_DEP_1) | instskip(SKIP_1) | instid1(VALU_DEP_1)
	v_lshlrev_b64 v[2:3], 2, v[2:3]
	s_waitcnt lgkmcnt(0)
	v_add_co_u32 v2, vcc_lo, s0, v2
	s_delay_alu instid0(VALU_DEP_2)
	v_add_co_ci_u32_e32 v3, vcc_lo, s1, v3, vcc_lo
	global_store_b32 v[2:3], v1, off
	s_nop 0
	s_sendmsg sendmsg(MSG_DEALLOC_VGPRS)
	s_endpgm
	.section	.rodata,"a",@progbits
	.p2align	6, 0x0
	.amdhsa_kernel _Z20warp_exchange_kernelILj256ELj1ELj32EN6common18BlockedToStripedOpEiEvPT3_j
		.amdhsa_group_segment_fixed_size 1024
		.amdhsa_private_segment_fixed_size 0
		.amdhsa_kernarg_size 12
		.amdhsa_user_sgpr_count 15
		.amdhsa_user_sgpr_dispatch_ptr 0
		.amdhsa_user_sgpr_queue_ptr 0
		.amdhsa_user_sgpr_kernarg_segment_ptr 1
		.amdhsa_user_sgpr_dispatch_id 0
		.amdhsa_user_sgpr_private_segment_size 0
		.amdhsa_wavefront_size32 1
		.amdhsa_uses_dynamic_stack 0
		.amdhsa_enable_private_segment 0
		.amdhsa_system_sgpr_workgroup_id_x 1
		.amdhsa_system_sgpr_workgroup_id_y 0
		.amdhsa_system_sgpr_workgroup_id_z 0
		.amdhsa_system_sgpr_workgroup_info 0
		.amdhsa_system_vgpr_workitem_id 0
		.amdhsa_next_free_vgpr 4
		.amdhsa_next_free_sgpr 16
		.amdhsa_reserve_vcc 1
		.amdhsa_float_round_mode_32 0
		.amdhsa_float_round_mode_16_64 0
		.amdhsa_float_denorm_mode_32 3
		.amdhsa_float_denorm_mode_16_64 3
		.amdhsa_dx10_clamp 1
		.amdhsa_ieee_mode 1
		.amdhsa_fp16_overflow 0
		.amdhsa_workgroup_processor_mode 1
		.amdhsa_memory_ordered 1
		.amdhsa_forward_progress 0
		.amdhsa_shared_vgpr_count 0
		.amdhsa_exception_fp_ieee_invalid_op 0
		.amdhsa_exception_fp_denorm_src 0
		.amdhsa_exception_fp_ieee_div_zero 0
		.amdhsa_exception_fp_ieee_overflow 0
		.amdhsa_exception_fp_ieee_underflow 0
		.amdhsa_exception_fp_ieee_inexact 0
		.amdhsa_exception_int_div_zero 0
	.end_amdhsa_kernel
	.section	.text._Z20warp_exchange_kernelILj256ELj1ELj32EN6common18BlockedToStripedOpEiEvPT3_j,"axG",@progbits,_Z20warp_exchange_kernelILj256ELj1ELj32EN6common18BlockedToStripedOpEiEvPT3_j,comdat
.Lfunc_end1:
	.size	_Z20warp_exchange_kernelILj256ELj1ELj32EN6common18BlockedToStripedOpEiEvPT3_j, .Lfunc_end1-_Z20warp_exchange_kernelILj256ELj1ELj32EN6common18BlockedToStripedOpEiEvPT3_j
                                        ; -- End function
	.section	.AMDGPU.csdata,"",@progbits
; Kernel info:
; codeLenInByte = 172
; NumSgprs: 18
; NumVgprs: 4
; ScratchSize: 0
; MemoryBound: 0
; FloatMode: 240
; IeeeMode: 1
; LDSByteSize: 1024 bytes/workgroup (compile time only)
; SGPRBlocks: 2
; VGPRBlocks: 0
; NumSGPRsForWavesPerEU: 18
; NumVGPRsForWavesPerEU: 4
; Occupancy: 16
; WaveLimiterHint : 0
; COMPUTE_PGM_RSRC2:SCRATCH_EN: 0
; COMPUTE_PGM_RSRC2:USER_SGPR: 15
; COMPUTE_PGM_RSRC2:TRAP_HANDLER: 0
; COMPUTE_PGM_RSRC2:TGID_X_EN: 1
; COMPUTE_PGM_RSRC2:TGID_Y_EN: 0
; COMPUTE_PGM_RSRC2:TGID_Z_EN: 0
; COMPUTE_PGM_RSRC2:TIDIG_COMP_CNT: 0
	.section	.text._Z20warp_exchange_kernelILj256ELj4ELj16EN6common18BlockedToStripedOpEiEvPT3_j,"axG",@progbits,_Z20warp_exchange_kernelILj256ELj4ELj16EN6common18BlockedToStripedOpEiEvPT3_j,comdat
	.protected	_Z20warp_exchange_kernelILj256ELj4ELj16EN6common18BlockedToStripedOpEiEvPT3_j ; -- Begin function _Z20warp_exchange_kernelILj256ELj4ELj16EN6common18BlockedToStripedOpEiEvPT3_j
	.globl	_Z20warp_exchange_kernelILj256ELj4ELj16EN6common18BlockedToStripedOpEiEvPT3_j
	.p2align	8
	.type	_Z20warp_exchange_kernelILj256ELj4ELj16EN6common18BlockedToStripedOpEiEvPT3_j,@function
_Z20warp_exchange_kernelILj256ELj4ELj16EN6common18BlockedToStripedOpEiEvPT3_j: ; @_Z20warp_exchange_kernelILj256ELj4ELj16EN6common18BlockedToStripedOpEiEvPT3_j
; %bb.0:
	s_load_b32 s2, s[0:1], 0x8
	v_lshlrev_b32_e32 v4, 2, v0
	s_delay_alu instid0(VALU_DEP_1)
	v_or_b32_e32 v1, 1, v4
	v_or_b32_e32 v2, 2, v4
	;; [unrolled: 1-line block ×3, first 2 shown]
	s_waitcnt lgkmcnt(0)
	s_cmp_eq_u32 s2, 0
	s_cbranch_scc1 .LBB2_3
; %bb.1:
	v_mbcnt_lo_u32_b32 v5, -1, 0
	v_lshlrev_b32_e32 v0, 4, v0
	s_delay_alu instid0(VALU_DEP_2) | instskip(NEXT) | instid1(VALU_DEP_1)
	v_and_b32_e32 v5, 15, v5
	v_lshlrev_b32_e32 v6, 4, v5
	v_mul_i32_i24_e32 v7, -12, v5
	s_delay_alu instid0(VALU_DEP_2) | instskip(SKIP_1) | instid1(VALU_DEP_2)
	v_and_or_b32 v5, 0xf00, v0, v6
	v_mov_b32_e32 v0, v4
	v_add_nc_u32_e32 v6, v5, v7
.LBB2_2:                                ; =>This Inner Loop Header: Depth=1
	s_waitcnt lgkmcnt(0)
	ds_store_b128 v5, v[0:3]
	; wave barrier
	ds_load_2addr_b32 v[0:1], v6 offset1:16
	ds_load_2addr_b32 v[2:3], v6 offset0:32 offset1:48
	s_add_i32 s2, s2, -1
	s_delay_alu instid0(SALU_CYCLE_1)
	s_cmp_lg_u32 s2, 0
	; wave barrier
	s_cbranch_scc1 .LBB2_2
	s_branch .LBB2_4
.LBB2_3:
	v_mov_b32_e32 v0, v4
.LBB2_4:
	s_load_b64 s[0:1], s[0:1], 0x0
	v_lshl_or_b32 v4, s15, 10, v4
	v_mov_b32_e32 v5, 0
	s_delay_alu instid0(VALU_DEP_1) | instskip(SKIP_1) | instid1(VALU_DEP_1)
	v_lshlrev_b64 v[4:5], 2, v[4:5]
	s_waitcnt lgkmcnt(0)
	v_add_co_u32 v4, vcc_lo, s0, v4
	s_delay_alu instid0(VALU_DEP_2)
	v_add_co_ci_u32_e32 v5, vcc_lo, s1, v5, vcc_lo
	global_store_b128 v[4:5], v[0:3], off
	s_nop 0
	s_sendmsg sendmsg(MSG_DEALLOC_VGPRS)
	s_endpgm
	.section	.rodata,"a",@progbits
	.p2align	6, 0x0
	.amdhsa_kernel _Z20warp_exchange_kernelILj256ELj4ELj16EN6common18BlockedToStripedOpEiEvPT3_j
		.amdhsa_group_segment_fixed_size 4096
		.amdhsa_private_segment_fixed_size 0
		.amdhsa_kernarg_size 12
		.amdhsa_user_sgpr_count 15
		.amdhsa_user_sgpr_dispatch_ptr 0
		.amdhsa_user_sgpr_queue_ptr 0
		.amdhsa_user_sgpr_kernarg_segment_ptr 1
		.amdhsa_user_sgpr_dispatch_id 0
		.amdhsa_user_sgpr_private_segment_size 0
		.amdhsa_wavefront_size32 1
		.amdhsa_uses_dynamic_stack 0
		.amdhsa_enable_private_segment 0
		.amdhsa_system_sgpr_workgroup_id_x 1
		.amdhsa_system_sgpr_workgroup_id_y 0
		.amdhsa_system_sgpr_workgroup_id_z 0
		.amdhsa_system_sgpr_workgroup_info 0
		.amdhsa_system_vgpr_workitem_id 0
		.amdhsa_next_free_vgpr 8
		.amdhsa_next_free_sgpr 16
		.amdhsa_reserve_vcc 1
		.amdhsa_float_round_mode_32 0
		.amdhsa_float_round_mode_16_64 0
		.amdhsa_float_denorm_mode_32 3
		.amdhsa_float_denorm_mode_16_64 3
		.amdhsa_dx10_clamp 1
		.amdhsa_ieee_mode 1
		.amdhsa_fp16_overflow 0
		.amdhsa_workgroup_processor_mode 1
		.amdhsa_memory_ordered 1
		.amdhsa_forward_progress 0
		.amdhsa_shared_vgpr_count 0
		.amdhsa_exception_fp_ieee_invalid_op 0
		.amdhsa_exception_fp_denorm_src 0
		.amdhsa_exception_fp_ieee_div_zero 0
		.amdhsa_exception_fp_ieee_overflow 0
		.amdhsa_exception_fp_ieee_underflow 0
		.amdhsa_exception_fp_ieee_inexact 0
		.amdhsa_exception_int_div_zero 0
	.end_amdhsa_kernel
	.section	.text._Z20warp_exchange_kernelILj256ELj4ELj16EN6common18BlockedToStripedOpEiEvPT3_j,"axG",@progbits,_Z20warp_exchange_kernelILj256ELj4ELj16EN6common18BlockedToStripedOpEiEvPT3_j,comdat
.Lfunc_end2:
	.size	_Z20warp_exchange_kernelILj256ELj4ELj16EN6common18BlockedToStripedOpEiEvPT3_j, .Lfunc_end2-_Z20warp_exchange_kernelILj256ELj4ELj16EN6common18BlockedToStripedOpEiEvPT3_j
                                        ; -- End function
	.section	.AMDGPU.csdata,"",@progbits
; Kernel info:
; codeLenInByte = 216
; NumSgprs: 18
; NumVgprs: 8
; ScratchSize: 0
; MemoryBound: 0
; FloatMode: 240
; IeeeMode: 1
; LDSByteSize: 4096 bytes/workgroup (compile time only)
; SGPRBlocks: 2
; VGPRBlocks: 0
; NumSGPRsForWavesPerEU: 18
; NumVGPRsForWavesPerEU: 8
; Occupancy: 16
; WaveLimiterHint : 0
; COMPUTE_PGM_RSRC2:SCRATCH_EN: 0
; COMPUTE_PGM_RSRC2:USER_SGPR: 15
; COMPUTE_PGM_RSRC2:TRAP_HANDLER: 0
; COMPUTE_PGM_RSRC2:TGID_X_EN: 1
; COMPUTE_PGM_RSRC2:TGID_Y_EN: 0
; COMPUTE_PGM_RSRC2:TGID_Z_EN: 0
; COMPUTE_PGM_RSRC2:TIDIG_COMP_CNT: 0
	.section	.text._Z20warp_exchange_kernelILj256ELj4ELj32EN6common18BlockedToStripedOpEiEvPT3_j,"axG",@progbits,_Z20warp_exchange_kernelILj256ELj4ELj32EN6common18BlockedToStripedOpEiEvPT3_j,comdat
	.protected	_Z20warp_exchange_kernelILj256ELj4ELj32EN6common18BlockedToStripedOpEiEvPT3_j ; -- Begin function _Z20warp_exchange_kernelILj256ELj4ELj32EN6common18BlockedToStripedOpEiEvPT3_j
	.globl	_Z20warp_exchange_kernelILj256ELj4ELj32EN6common18BlockedToStripedOpEiEvPT3_j
	.p2align	8
	.type	_Z20warp_exchange_kernelILj256ELj4ELj32EN6common18BlockedToStripedOpEiEvPT3_j,@function
_Z20warp_exchange_kernelILj256ELj4ELj32EN6common18BlockedToStripedOpEiEvPT3_j: ; @_Z20warp_exchange_kernelILj256ELj4ELj32EN6common18BlockedToStripedOpEiEvPT3_j
; %bb.0:
	s_load_b32 s2, s[0:1], 0x8
	v_lshlrev_b32_e32 v4, 2, v0
	s_delay_alu instid0(VALU_DEP_1)
	v_or_b32_e32 v1, 1, v4
	v_or_b32_e32 v2, 2, v4
	v_or_b32_e32 v3, 3, v4
	s_waitcnt lgkmcnt(0)
	s_cmp_eq_u32 s2, 0
	s_cbranch_scc1 .LBB3_3
; %bb.1:
	v_lshlrev_b32_e32 v0, 4, v0
	v_mbcnt_lo_u32_b32 v6, -1, 0
	s_delay_alu instid0(VALU_DEP_2) | instskip(NEXT) | instid1(VALU_DEP_1)
	v_and_b32_e32 v0, 0xe00, v0
	v_lshl_or_b32 v5, v6, 4, v0
	v_lshl_or_b32 v6, v6, 2, v0
	v_mov_b32_e32 v0, v4
.LBB3_2:                                ; =>This Inner Loop Header: Depth=1
	s_waitcnt lgkmcnt(0)
	ds_store_b128 v5, v[0:3]
	; wave barrier
	ds_load_2addr_b32 v[0:1], v6 offset1:32
	ds_load_2addr_b32 v[2:3], v6 offset0:64 offset1:96
	s_add_i32 s2, s2, -1
	s_delay_alu instid0(SALU_CYCLE_1)
	s_cmp_lg_u32 s2, 0
	; wave barrier
	s_cbranch_scc1 .LBB3_2
	s_branch .LBB3_4
.LBB3_3:
	v_mov_b32_e32 v0, v4
.LBB3_4:
	s_load_b64 s[0:1], s[0:1], 0x0
	v_lshl_or_b32 v4, s15, 10, v4
	v_mov_b32_e32 v5, 0
	s_delay_alu instid0(VALU_DEP_1) | instskip(SKIP_1) | instid1(VALU_DEP_1)
	v_lshlrev_b64 v[4:5], 2, v[4:5]
	s_waitcnt lgkmcnt(0)
	v_add_co_u32 v4, vcc_lo, s0, v4
	s_delay_alu instid0(VALU_DEP_2)
	v_add_co_ci_u32_e32 v5, vcc_lo, s1, v5, vcc_lo
	global_store_b128 v[4:5], v[0:3], off
	s_nop 0
	s_sendmsg sendmsg(MSG_DEALLOC_VGPRS)
	s_endpgm
	.section	.rodata,"a",@progbits
	.p2align	6, 0x0
	.amdhsa_kernel _Z20warp_exchange_kernelILj256ELj4ELj32EN6common18BlockedToStripedOpEiEvPT3_j
		.amdhsa_group_segment_fixed_size 4096
		.amdhsa_private_segment_fixed_size 0
		.amdhsa_kernarg_size 12
		.amdhsa_user_sgpr_count 15
		.amdhsa_user_sgpr_dispatch_ptr 0
		.amdhsa_user_sgpr_queue_ptr 0
		.amdhsa_user_sgpr_kernarg_segment_ptr 1
		.amdhsa_user_sgpr_dispatch_id 0
		.amdhsa_user_sgpr_private_segment_size 0
		.amdhsa_wavefront_size32 1
		.amdhsa_uses_dynamic_stack 0
		.amdhsa_enable_private_segment 0
		.amdhsa_system_sgpr_workgroup_id_x 1
		.amdhsa_system_sgpr_workgroup_id_y 0
		.amdhsa_system_sgpr_workgroup_id_z 0
		.amdhsa_system_sgpr_workgroup_info 0
		.amdhsa_system_vgpr_workitem_id 0
		.amdhsa_next_free_vgpr 7
		.amdhsa_next_free_sgpr 16
		.amdhsa_reserve_vcc 1
		.amdhsa_float_round_mode_32 0
		.amdhsa_float_round_mode_16_64 0
		.amdhsa_float_denorm_mode_32 3
		.amdhsa_float_denorm_mode_16_64 3
		.amdhsa_dx10_clamp 1
		.amdhsa_ieee_mode 1
		.amdhsa_fp16_overflow 0
		.amdhsa_workgroup_processor_mode 1
		.amdhsa_memory_ordered 1
		.amdhsa_forward_progress 0
		.amdhsa_shared_vgpr_count 0
		.amdhsa_exception_fp_ieee_invalid_op 0
		.amdhsa_exception_fp_denorm_src 0
		.amdhsa_exception_fp_ieee_div_zero 0
		.amdhsa_exception_fp_ieee_overflow 0
		.amdhsa_exception_fp_ieee_underflow 0
		.amdhsa_exception_fp_ieee_inexact 0
		.amdhsa_exception_int_div_zero 0
	.end_amdhsa_kernel
	.section	.text._Z20warp_exchange_kernelILj256ELj4ELj32EN6common18BlockedToStripedOpEiEvPT3_j,"axG",@progbits,_Z20warp_exchange_kernelILj256ELj4ELj32EN6common18BlockedToStripedOpEiEvPT3_j,comdat
.Lfunc_end3:
	.size	_Z20warp_exchange_kernelILj256ELj4ELj32EN6common18BlockedToStripedOpEiEvPT3_j, .Lfunc_end3-_Z20warp_exchange_kernelILj256ELj4ELj32EN6common18BlockedToStripedOpEiEvPT3_j
                                        ; -- End function
	.section	.AMDGPU.csdata,"",@progbits
; Kernel info:
; codeLenInByte = 208
; NumSgprs: 18
; NumVgprs: 7
; ScratchSize: 0
; MemoryBound: 0
; FloatMode: 240
; IeeeMode: 1
; LDSByteSize: 4096 bytes/workgroup (compile time only)
; SGPRBlocks: 2
; VGPRBlocks: 0
; NumSGPRsForWavesPerEU: 18
; NumVGPRsForWavesPerEU: 7
; Occupancy: 16
; WaveLimiterHint : 0
; COMPUTE_PGM_RSRC2:SCRATCH_EN: 0
; COMPUTE_PGM_RSRC2:USER_SGPR: 15
; COMPUTE_PGM_RSRC2:TRAP_HANDLER: 0
; COMPUTE_PGM_RSRC2:TGID_X_EN: 1
; COMPUTE_PGM_RSRC2:TGID_Y_EN: 0
; COMPUTE_PGM_RSRC2:TGID_Z_EN: 0
; COMPUTE_PGM_RSRC2:TIDIG_COMP_CNT: 0
	.section	.text._Z20warp_exchange_kernelILj256ELj16ELj16EN6common18BlockedToStripedOpEiEvPT3_j,"axG",@progbits,_Z20warp_exchange_kernelILj256ELj16ELj16EN6common18BlockedToStripedOpEiEvPT3_j,comdat
	.protected	_Z20warp_exchange_kernelILj256ELj16ELj16EN6common18BlockedToStripedOpEiEvPT3_j ; -- Begin function _Z20warp_exchange_kernelILj256ELj16ELj16EN6common18BlockedToStripedOpEiEvPT3_j
	.globl	_Z20warp_exchange_kernelILj256ELj16ELj16EN6common18BlockedToStripedOpEiEvPT3_j
	.p2align	8
	.type	_Z20warp_exchange_kernelILj256ELj16ELj16EN6common18BlockedToStripedOpEiEvPT3_j,@function
_Z20warp_exchange_kernelILj256ELj16ELj16EN6common18BlockedToStripedOpEiEvPT3_j: ; @_Z20warp_exchange_kernelILj256ELj16ELj16EN6common18BlockedToStripedOpEiEvPT3_j
; %bb.0:
	s_load_b32 s2, s[0:1], 0x8
	v_lshlrev_b32_e32 v17, 4, v0
	s_delay_alu instid0(VALU_DEP_1)
	v_or_b32_e32 v14, 1, v17
	v_or_b32_e32 v15, 2, v17
	;; [unrolled: 1-line block ×15, first 2 shown]
	s_waitcnt lgkmcnt(0)
	s_cmp_eq_u32 s2, 0
	s_cbranch_scc1 .LBB4_3
; %bb.1:
	v_mbcnt_lo_u32_b32 v13, -1, 0
	v_lshlrev_b32_e32 v0, 6, v0
	s_delay_alu instid0(VALU_DEP_2) | instskip(NEXT) | instid1(VALU_DEP_1)
	v_and_b32_e32 v13, 15, v13
	v_lshlrev_b32_e32 v18, 6, v13
	v_mul_i32_i24_e32 v13, 0xffffffc4, v13
	s_delay_alu instid0(VALU_DEP_2) | instskip(NEXT) | instid1(VALU_DEP_1)
	v_and_or_b32 v0, 0x3c00, v0, v18
	v_dual_mov_b32 v13, v17 :: v_dual_add_nc_u32 v18, v0, v13
	.p2align	6
.LBB4_2:                                ; =>This Inner Loop Header: Depth=1
	s_waitcnt lgkmcnt(6)
	ds_store_b128 v0, v[13:16]
	s_waitcnt lgkmcnt(5)
	ds_store_b128 v0, v[9:12] offset:16
	s_waitcnt lgkmcnt(4)
	ds_store_b128 v0, v[5:8] offset:32
	;; [unrolled: 2-line block ×3, first 2 shown]
	; wave barrier
	ds_load_2addr_b32 v[13:14], v18 offset1:16
	ds_load_2addr_b32 v[15:16], v18 offset0:32 offset1:48
	ds_load_2addr_b32 v[9:10], v18 offset0:64 offset1:80
	;; [unrolled: 1-line block ×7, first 2 shown]
	s_add_i32 s2, s2, -1
	s_delay_alu instid0(SALU_CYCLE_1)
	s_cmp_lg_u32 s2, 0
	; wave barrier
	s_cbranch_scc1 .LBB4_2
	s_branch .LBB4_4
.LBB4_3:
	v_mov_b32_e32 v13, v17
.LBB4_4:
	s_load_b64 s[0:1], s[0:1], 0x0
	v_lshl_or_b32 v17, s15, 12, v17
	v_mov_b32_e32 v18, 0
	s_delay_alu instid0(VALU_DEP_1) | instskip(SKIP_1) | instid1(VALU_DEP_1)
	v_lshlrev_b64 v[17:18], 2, v[17:18]
	s_waitcnt lgkmcnt(0)
	v_add_co_u32 v17, vcc_lo, s0, v17
	s_delay_alu instid0(VALU_DEP_2)
	v_add_co_ci_u32_e32 v18, vcc_lo, s1, v18, vcc_lo
	s_clause 0x3
	global_store_b128 v[17:18], v[13:16], off
	global_store_b128 v[17:18], v[9:12], off offset:16
	global_store_b128 v[17:18], v[5:8], off offset:32
	;; [unrolled: 1-line block ×3, first 2 shown]
	s_nop 0
	s_sendmsg sendmsg(MSG_DEALLOC_VGPRS)
	s_endpgm
	.section	.rodata,"a",@progbits
	.p2align	6, 0x0
	.amdhsa_kernel _Z20warp_exchange_kernelILj256ELj16ELj16EN6common18BlockedToStripedOpEiEvPT3_j
		.amdhsa_group_segment_fixed_size 16384
		.amdhsa_private_segment_fixed_size 0
		.amdhsa_kernarg_size 12
		.amdhsa_user_sgpr_count 15
		.amdhsa_user_sgpr_dispatch_ptr 0
		.amdhsa_user_sgpr_queue_ptr 0
		.amdhsa_user_sgpr_kernarg_segment_ptr 1
		.amdhsa_user_sgpr_dispatch_id 0
		.amdhsa_user_sgpr_private_segment_size 0
		.amdhsa_wavefront_size32 1
		.amdhsa_uses_dynamic_stack 0
		.amdhsa_enable_private_segment 0
		.amdhsa_system_sgpr_workgroup_id_x 1
		.amdhsa_system_sgpr_workgroup_id_y 0
		.amdhsa_system_sgpr_workgroup_id_z 0
		.amdhsa_system_sgpr_workgroup_info 0
		.amdhsa_system_vgpr_workitem_id 0
		.amdhsa_next_free_vgpr 19
		.amdhsa_next_free_sgpr 16
		.amdhsa_reserve_vcc 1
		.amdhsa_float_round_mode_32 0
		.amdhsa_float_round_mode_16_64 0
		.amdhsa_float_denorm_mode_32 3
		.amdhsa_float_denorm_mode_16_64 3
		.amdhsa_dx10_clamp 1
		.amdhsa_ieee_mode 1
		.amdhsa_fp16_overflow 0
		.amdhsa_workgroup_processor_mode 1
		.amdhsa_memory_ordered 1
		.amdhsa_forward_progress 0
		.amdhsa_shared_vgpr_count 0
		.amdhsa_exception_fp_ieee_invalid_op 0
		.amdhsa_exception_fp_denorm_src 0
		.amdhsa_exception_fp_ieee_div_zero 0
		.amdhsa_exception_fp_ieee_overflow 0
		.amdhsa_exception_fp_ieee_underflow 0
		.amdhsa_exception_fp_ieee_inexact 0
		.amdhsa_exception_int_div_zero 0
	.end_amdhsa_kernel
	.section	.text._Z20warp_exchange_kernelILj256ELj16ELj16EN6common18BlockedToStripedOpEiEvPT3_j,"axG",@progbits,_Z20warp_exchange_kernelILj256ELj16ELj16EN6common18BlockedToStripedOpEiEvPT3_j,comdat
.Lfunc_end4:
	.size	_Z20warp_exchange_kernelILj256ELj16ELj16EN6common18BlockedToStripedOpEiEvPT3_j, .Lfunc_end4-_Z20warp_exchange_kernelILj256ELj16ELj16EN6common18BlockedToStripedOpEiEvPT3_j
                                        ; -- End function
	.section	.AMDGPU.csdata,"",@progbits
; Kernel info:
; codeLenInByte = 380
; NumSgprs: 18
; NumVgprs: 19
; ScratchSize: 0
; MemoryBound: 0
; FloatMode: 240
; IeeeMode: 1
; LDSByteSize: 16384 bytes/workgroup (compile time only)
; SGPRBlocks: 2
; VGPRBlocks: 2
; NumSGPRsForWavesPerEU: 18
; NumVGPRsForWavesPerEU: 19
; Occupancy: 16
; WaveLimiterHint : 0
; COMPUTE_PGM_RSRC2:SCRATCH_EN: 0
; COMPUTE_PGM_RSRC2:USER_SGPR: 15
; COMPUTE_PGM_RSRC2:TRAP_HANDLER: 0
; COMPUTE_PGM_RSRC2:TGID_X_EN: 1
; COMPUTE_PGM_RSRC2:TGID_Y_EN: 0
; COMPUTE_PGM_RSRC2:TGID_Z_EN: 0
; COMPUTE_PGM_RSRC2:TIDIG_COMP_CNT: 0
	.section	.text._Z20warp_exchange_kernelILj256ELj16ELj32EN6common18BlockedToStripedOpEiEvPT3_j,"axG",@progbits,_Z20warp_exchange_kernelILj256ELj16ELj32EN6common18BlockedToStripedOpEiEvPT3_j,comdat
	.protected	_Z20warp_exchange_kernelILj256ELj16ELj32EN6common18BlockedToStripedOpEiEvPT3_j ; -- Begin function _Z20warp_exchange_kernelILj256ELj16ELj32EN6common18BlockedToStripedOpEiEvPT3_j
	.globl	_Z20warp_exchange_kernelILj256ELj16ELj32EN6common18BlockedToStripedOpEiEvPT3_j
	.p2align	8
	.type	_Z20warp_exchange_kernelILj256ELj16ELj32EN6common18BlockedToStripedOpEiEvPT3_j,@function
_Z20warp_exchange_kernelILj256ELj16ELj32EN6common18BlockedToStripedOpEiEvPT3_j: ; @_Z20warp_exchange_kernelILj256ELj16ELj32EN6common18BlockedToStripedOpEiEvPT3_j
; %bb.0:
	s_load_b32 s2, s[0:1], 0x8
	v_lshlrev_b32_e32 v17, 4, v0
	s_delay_alu instid0(VALU_DEP_1)
	v_or_b32_e32 v14, 1, v17
	v_or_b32_e32 v15, 2, v17
	;; [unrolled: 1-line block ×15, first 2 shown]
	s_waitcnt lgkmcnt(0)
	s_cmp_eq_u32 s2, 0
	s_cbranch_scc1 .LBB5_3
; %bb.1:
	v_lshlrev_b32_e32 v0, 6, v0
	v_mbcnt_lo_u32_b32 v13, -1, 0
	s_delay_alu instid0(VALU_DEP_2) | instskip(NEXT) | instid1(VALU_DEP_1)
	v_and_b32_e32 v18, 0x3800, v0
	v_lshl_or_b32 v0, v13, 2, v18
	v_lshl_or_b32 v18, v13, 6, v18
	v_mov_b32_e32 v13, v17
	s_delay_alu instid0(VALU_DEP_3)
	v_add_nc_u32_e32 v19, 0x400, v0
	.p2align	6
.LBB5_2:                                ; =>This Inner Loop Header: Depth=1
	s_waitcnt lgkmcnt(6)
	ds_store_b128 v18, v[13:16]
	s_waitcnt lgkmcnt(5)
	ds_store_b128 v18, v[9:12] offset:16
	s_waitcnt lgkmcnt(4)
	ds_store_b128 v18, v[5:8] offset:32
	;; [unrolled: 2-line block ×3, first 2 shown]
	; wave barrier
	ds_load_2addr_b32 v[13:14], v0 offset1:32
	ds_load_2addr_b32 v[15:16], v0 offset0:64 offset1:96
	ds_load_2addr_b32 v[9:10], v0 offset0:128 offset1:160
	;; [unrolled: 1-line block ×3, first 2 shown]
	ds_load_2addr_b32 v[5:6], v19 offset1:32
	ds_load_2addr_b32 v[7:8], v19 offset0:64 offset1:96
	ds_load_2addr_b32 v[1:2], v19 offset0:128 offset1:160
	;; [unrolled: 1-line block ×3, first 2 shown]
	s_add_i32 s2, s2, -1
	s_delay_alu instid0(SALU_CYCLE_1)
	s_cmp_lg_u32 s2, 0
	; wave barrier
	s_cbranch_scc1 .LBB5_2
	s_branch .LBB5_4
.LBB5_3:
	v_mov_b32_e32 v13, v17
.LBB5_4:
	s_load_b64 s[0:1], s[0:1], 0x0
	v_lshl_or_b32 v17, s15, 12, v17
	v_mov_b32_e32 v18, 0
	s_delay_alu instid0(VALU_DEP_1) | instskip(SKIP_1) | instid1(VALU_DEP_1)
	v_lshlrev_b64 v[17:18], 2, v[17:18]
	s_waitcnt lgkmcnt(0)
	v_add_co_u32 v17, vcc_lo, s0, v17
	s_delay_alu instid0(VALU_DEP_2)
	v_add_co_ci_u32_e32 v18, vcc_lo, s1, v18, vcc_lo
	s_clause 0x3
	global_store_b128 v[17:18], v[13:16], off
	global_store_b128 v[17:18], v[9:12], off offset:16
	global_store_b128 v[17:18], v[5:8], off offset:32
	;; [unrolled: 1-line block ×3, first 2 shown]
	s_nop 0
	s_sendmsg sendmsg(MSG_DEALLOC_VGPRS)
	s_endpgm
	.section	.rodata,"a",@progbits
	.p2align	6, 0x0
	.amdhsa_kernel _Z20warp_exchange_kernelILj256ELj16ELj32EN6common18BlockedToStripedOpEiEvPT3_j
		.amdhsa_group_segment_fixed_size 16384
		.amdhsa_private_segment_fixed_size 0
		.amdhsa_kernarg_size 12
		.amdhsa_user_sgpr_count 15
		.amdhsa_user_sgpr_dispatch_ptr 0
		.amdhsa_user_sgpr_queue_ptr 0
		.amdhsa_user_sgpr_kernarg_segment_ptr 1
		.amdhsa_user_sgpr_dispatch_id 0
		.amdhsa_user_sgpr_private_segment_size 0
		.amdhsa_wavefront_size32 1
		.amdhsa_uses_dynamic_stack 0
		.amdhsa_enable_private_segment 0
		.amdhsa_system_sgpr_workgroup_id_x 1
		.amdhsa_system_sgpr_workgroup_id_y 0
		.amdhsa_system_sgpr_workgroup_id_z 0
		.amdhsa_system_sgpr_workgroup_info 0
		.amdhsa_system_vgpr_workitem_id 0
		.amdhsa_next_free_vgpr 20
		.amdhsa_next_free_sgpr 16
		.amdhsa_reserve_vcc 1
		.amdhsa_float_round_mode_32 0
		.amdhsa_float_round_mode_16_64 0
		.amdhsa_float_denorm_mode_32 3
		.amdhsa_float_denorm_mode_16_64 3
		.amdhsa_dx10_clamp 1
		.amdhsa_ieee_mode 1
		.amdhsa_fp16_overflow 0
		.amdhsa_workgroup_processor_mode 1
		.amdhsa_memory_ordered 1
		.amdhsa_forward_progress 0
		.amdhsa_shared_vgpr_count 0
		.amdhsa_exception_fp_ieee_invalid_op 0
		.amdhsa_exception_fp_denorm_src 0
		.amdhsa_exception_fp_ieee_div_zero 0
		.amdhsa_exception_fp_ieee_overflow 0
		.amdhsa_exception_fp_ieee_underflow 0
		.amdhsa_exception_fp_ieee_inexact 0
		.amdhsa_exception_int_div_zero 0
	.end_amdhsa_kernel
	.section	.text._Z20warp_exchange_kernelILj256ELj16ELj32EN6common18BlockedToStripedOpEiEvPT3_j,"axG",@progbits,_Z20warp_exchange_kernelILj256ELj16ELj32EN6common18BlockedToStripedOpEiEvPT3_j,comdat
.Lfunc_end5:
	.size	_Z20warp_exchange_kernelILj256ELj16ELj32EN6common18BlockedToStripedOpEiEvPT3_j, .Lfunc_end5-_Z20warp_exchange_kernelILj256ELj16ELj32EN6common18BlockedToStripedOpEiEvPT3_j
                                        ; -- End function
	.section	.AMDGPU.csdata,"",@progbits
; Kernel info:
; codeLenInByte = 380
; NumSgprs: 18
; NumVgprs: 20
; ScratchSize: 0
; MemoryBound: 0
; FloatMode: 240
; IeeeMode: 1
; LDSByteSize: 16384 bytes/workgroup (compile time only)
; SGPRBlocks: 2
; VGPRBlocks: 2
; NumSGPRsForWavesPerEU: 18
; NumVGPRsForWavesPerEU: 20
; Occupancy: 16
; WaveLimiterHint : 0
; COMPUTE_PGM_RSRC2:SCRATCH_EN: 0
; COMPUTE_PGM_RSRC2:USER_SGPR: 15
; COMPUTE_PGM_RSRC2:TRAP_HANDLER: 0
; COMPUTE_PGM_RSRC2:TGID_X_EN: 1
; COMPUTE_PGM_RSRC2:TGID_Y_EN: 0
; COMPUTE_PGM_RSRC2:TGID_Z_EN: 0
; COMPUTE_PGM_RSRC2:TIDIG_COMP_CNT: 0
	.section	.text._Z20warp_exchange_kernelILj256ELj32ELj32EN6common18BlockedToStripedOpEiEvPT3_j,"axG",@progbits,_Z20warp_exchange_kernelILj256ELj32ELj32EN6common18BlockedToStripedOpEiEvPT3_j,comdat
	.protected	_Z20warp_exchange_kernelILj256ELj32ELj32EN6common18BlockedToStripedOpEiEvPT3_j ; -- Begin function _Z20warp_exchange_kernelILj256ELj32ELj32EN6common18BlockedToStripedOpEiEvPT3_j
	.globl	_Z20warp_exchange_kernelILj256ELj32ELj32EN6common18BlockedToStripedOpEiEvPT3_j
	.p2align	8
	.type	_Z20warp_exchange_kernelILj256ELj32ELj32EN6common18BlockedToStripedOpEiEvPT3_j,@function
_Z20warp_exchange_kernelILj256ELj32ELj32EN6common18BlockedToStripedOpEiEvPT3_j: ; @_Z20warp_exchange_kernelILj256ELj32ELj32EN6common18BlockedToStripedOpEiEvPT3_j
; %bb.0:
	s_load_b32 s2, s[0:1], 0x8
	v_lshlrev_b32_e32 v33, 5, v0
	s_delay_alu instid0(VALU_DEP_1)
	v_or_b32_e32 v30, 1, v33
	v_or_b32_e32 v31, 2, v33
	;; [unrolled: 1-line block ×31, first 2 shown]
	s_waitcnt lgkmcnt(0)
	s_cmp_eq_u32 s2, 0
	s_cbranch_scc1 .LBB6_3
; %bb.1:
	v_lshlrev_b32_e32 v0, 7, v0
	v_mbcnt_lo_u32_b32 v29, -1, 0
	s_delay_alu instid0(VALU_DEP_2) | instskip(NEXT) | instid1(VALU_DEP_1)
	v_and_b32_e32 v34, 0x7000, v0
	v_lshl_or_b32 v0, v29, 2, v34
	v_lshl_or_b32 v34, v29, 7, v34
	v_mov_b32_e32 v29, v33
	s_delay_alu instid0(VALU_DEP_3)
	v_add_nc_u32_e32 v35, 0x400, v0
	v_add_nc_u32_e32 v36, 0x800, v0
	;; [unrolled: 1-line block ×3, first 2 shown]
.LBB6_2:                                ; =>This Inner Loop Header: Depth=1
	s_waitcnt lgkmcnt(14)
	ds_store_b128 v34, v[29:32]
	s_waitcnt lgkmcnt(13)
	ds_store_b128 v34, v[25:28] offset:16
	s_waitcnt lgkmcnt(12)
	ds_store_b128 v34, v[21:24] offset:32
	;; [unrolled: 2-line block ×7, first 2 shown]
	; wave barrier
	ds_load_2addr_b32 v[29:30], v0 offset1:32
	ds_load_2addr_b32 v[31:32], v0 offset0:64 offset1:96
	ds_load_2addr_b32 v[25:26], v0 offset0:128 offset1:160
	ds_load_2addr_b32 v[27:28], v0 offset0:192 offset1:224
	ds_load_2addr_b32 v[21:22], v35 offset1:32
	ds_load_2addr_b32 v[23:24], v35 offset0:64 offset1:96
	ds_load_2addr_b32 v[17:18], v35 offset0:128 offset1:160
	ds_load_2addr_b32 v[19:20], v35 offset0:192 offset1:224
	;; [unrolled: 4-line block ×4, first 2 shown]
	s_add_i32 s2, s2, -1
	s_delay_alu instid0(SALU_CYCLE_1)
	s_cmp_lg_u32 s2, 0
	; wave barrier
	s_cbranch_scc1 .LBB6_2
	s_branch .LBB6_4
.LBB6_3:
	v_mov_b32_e32 v29, v33
.LBB6_4:
	s_load_b64 s[0:1], s[0:1], 0x0
	v_lshl_or_b32 v33, s15, 13, v33
	v_mov_b32_e32 v34, 0
	s_delay_alu instid0(VALU_DEP_1) | instskip(SKIP_1) | instid1(VALU_DEP_1)
	v_lshlrev_b64 v[33:34], 2, v[33:34]
	s_waitcnt lgkmcnt(0)
	v_add_co_u32 v33, vcc_lo, s0, v33
	s_delay_alu instid0(VALU_DEP_2)
	v_add_co_ci_u32_e32 v34, vcc_lo, s1, v34, vcc_lo
	s_clause 0x7
	global_store_b128 v[33:34], v[29:32], off
	global_store_b128 v[33:34], v[25:28], off offset:16
	global_store_b128 v[33:34], v[21:24], off offset:32
	;; [unrolled: 1-line block ×7, first 2 shown]
	s_nop 0
	s_sendmsg sendmsg(MSG_DEALLOC_VGPRS)
	s_endpgm
	.section	.rodata,"a",@progbits
	.p2align	6, 0x0
	.amdhsa_kernel _Z20warp_exchange_kernelILj256ELj32ELj32EN6common18BlockedToStripedOpEiEvPT3_j
		.amdhsa_group_segment_fixed_size 32768
		.amdhsa_private_segment_fixed_size 0
		.amdhsa_kernarg_size 12
		.amdhsa_user_sgpr_count 15
		.amdhsa_user_sgpr_dispatch_ptr 0
		.amdhsa_user_sgpr_queue_ptr 0
		.amdhsa_user_sgpr_kernarg_segment_ptr 1
		.amdhsa_user_sgpr_dispatch_id 0
		.amdhsa_user_sgpr_private_segment_size 0
		.amdhsa_wavefront_size32 1
		.amdhsa_uses_dynamic_stack 0
		.amdhsa_enable_private_segment 0
		.amdhsa_system_sgpr_workgroup_id_x 1
		.amdhsa_system_sgpr_workgroup_id_y 0
		.amdhsa_system_sgpr_workgroup_id_z 0
		.amdhsa_system_sgpr_workgroup_info 0
		.amdhsa_system_vgpr_workitem_id 0
		.amdhsa_next_free_vgpr 38
		.amdhsa_next_free_sgpr 16
		.amdhsa_reserve_vcc 1
		.amdhsa_float_round_mode_32 0
		.amdhsa_float_round_mode_16_64 0
		.amdhsa_float_denorm_mode_32 3
		.amdhsa_float_denorm_mode_16_64 3
		.amdhsa_dx10_clamp 1
		.amdhsa_ieee_mode 1
		.amdhsa_fp16_overflow 0
		.amdhsa_workgroup_processor_mode 1
		.amdhsa_memory_ordered 1
		.amdhsa_forward_progress 0
		.amdhsa_shared_vgpr_count 0
		.amdhsa_exception_fp_ieee_invalid_op 0
		.amdhsa_exception_fp_denorm_src 0
		.amdhsa_exception_fp_ieee_div_zero 0
		.amdhsa_exception_fp_ieee_overflow 0
		.amdhsa_exception_fp_ieee_underflow 0
		.amdhsa_exception_fp_ieee_inexact 0
		.amdhsa_exception_int_div_zero 0
	.end_amdhsa_kernel
	.section	.text._Z20warp_exchange_kernelILj256ELj32ELj32EN6common18BlockedToStripedOpEiEvPT3_j,"axG",@progbits,_Z20warp_exchange_kernelILj256ELj32ELj32EN6common18BlockedToStripedOpEiEvPT3_j,comdat
.Lfunc_end6:
	.size	_Z20warp_exchange_kernelILj256ELj32ELj32EN6common18BlockedToStripedOpEiEvPT3_j, .Lfunc_end6-_Z20warp_exchange_kernelILj256ELj32ELj32EN6common18BlockedToStripedOpEiEvPT3_j
                                        ; -- End function
	.section	.AMDGPU.csdata,"",@progbits
; Kernel info:
; codeLenInByte = 604
; NumSgprs: 18
; NumVgprs: 38
; ScratchSize: 0
; MemoryBound: 0
; FloatMode: 240
; IeeeMode: 1
; LDSByteSize: 32768 bytes/workgroup (compile time only)
; SGPRBlocks: 2
; VGPRBlocks: 4
; NumSGPRsForWavesPerEU: 18
; NumVGPRsForWavesPerEU: 38
; Occupancy: 8
; WaveLimiterHint : 0
; COMPUTE_PGM_RSRC2:SCRATCH_EN: 0
; COMPUTE_PGM_RSRC2:USER_SGPR: 15
; COMPUTE_PGM_RSRC2:TRAP_HANDLER: 0
; COMPUTE_PGM_RSRC2:TGID_X_EN: 1
; COMPUTE_PGM_RSRC2:TGID_Y_EN: 0
; COMPUTE_PGM_RSRC2:TGID_Z_EN: 0
; COMPUTE_PGM_RSRC2:TIDIG_COMP_CNT: 0
	.section	.text._Z20warp_exchange_kernelILj256ELj1ELj16EN6common18StripedToBlockedOpEiEvPT3_j,"axG",@progbits,_Z20warp_exchange_kernelILj256ELj1ELj16EN6common18StripedToBlockedOpEiEvPT3_j,comdat
	.protected	_Z20warp_exchange_kernelILj256ELj1ELj16EN6common18StripedToBlockedOpEiEvPT3_j ; -- Begin function _Z20warp_exchange_kernelILj256ELj1ELj16EN6common18StripedToBlockedOpEiEvPT3_j
	.globl	_Z20warp_exchange_kernelILj256ELj1ELj16EN6common18StripedToBlockedOpEiEvPT3_j
	.p2align	8
	.type	_Z20warp_exchange_kernelILj256ELj1ELj16EN6common18StripedToBlockedOpEiEvPT3_j,@function
_Z20warp_exchange_kernelILj256ELj1ELj16EN6common18StripedToBlockedOpEiEvPT3_j: ; @_Z20warp_exchange_kernelILj256ELj1ELj16EN6common18StripedToBlockedOpEiEvPT3_j
; %bb.0:
	s_load_b32 s2, s[0:1], 0x8
	s_waitcnt lgkmcnt(0)
	s_cmp_eq_u32 s2, 0
	s_cbranch_scc1 .LBB7_3
; %bb.1:
	v_mbcnt_lo_u32_b32 v1, -1, 0
	v_lshlrev_b32_e32 v2, 2, v0
	s_delay_alu instid0(VALU_DEP_2) | instskip(NEXT) | instid1(VALU_DEP_1)
	v_and_b32_e32 v1, 15, v1
	v_lshlrev_b32_e32 v1, 2, v1
	s_delay_alu instid0(VALU_DEP_1)
	v_and_or_b32 v2, 0x3c0, v2, v1
	v_mov_b32_e32 v1, v0
.LBB7_2:                                ; =>This Inner Loop Header: Depth=1
	s_waitcnt lgkmcnt(0)
	ds_store_b32 v2, v1
	; wave barrier
	ds_load_b32 v1, v2
	s_add_i32 s2, s2, -1
	s_delay_alu instid0(SALU_CYCLE_1)
	s_cmp_lg_u32 s2, 0
	; wave barrier
	s_cbranch_scc1 .LBB7_2
	s_branch .LBB7_4
.LBB7_3:
	v_mov_b32_e32 v1, v0
.LBB7_4:
	s_load_b64 s[0:1], s[0:1], 0x0
	v_lshl_or_b32 v2, s15, 8, v0
	v_mov_b32_e32 v3, 0
	s_delay_alu instid0(VALU_DEP_1) | instskip(SKIP_1) | instid1(VALU_DEP_1)
	v_lshlrev_b64 v[2:3], 2, v[2:3]
	s_waitcnt lgkmcnt(0)
	v_add_co_u32 v2, vcc_lo, s0, v2
	s_delay_alu instid0(VALU_DEP_2)
	v_add_co_ci_u32_e32 v3, vcc_lo, s1, v3, vcc_lo
	global_store_b32 v[2:3], v1, off
	s_nop 0
	s_sendmsg sendmsg(MSG_DEALLOC_VGPRS)
	s_endpgm
	.section	.rodata,"a",@progbits
	.p2align	6, 0x0
	.amdhsa_kernel _Z20warp_exchange_kernelILj256ELj1ELj16EN6common18StripedToBlockedOpEiEvPT3_j
		.amdhsa_group_segment_fixed_size 1024
		.amdhsa_private_segment_fixed_size 0
		.amdhsa_kernarg_size 12
		.amdhsa_user_sgpr_count 15
		.amdhsa_user_sgpr_dispatch_ptr 0
		.amdhsa_user_sgpr_queue_ptr 0
		.amdhsa_user_sgpr_kernarg_segment_ptr 1
		.amdhsa_user_sgpr_dispatch_id 0
		.amdhsa_user_sgpr_private_segment_size 0
		.amdhsa_wavefront_size32 1
		.amdhsa_uses_dynamic_stack 0
		.amdhsa_enable_private_segment 0
		.amdhsa_system_sgpr_workgroup_id_x 1
		.amdhsa_system_sgpr_workgroup_id_y 0
		.amdhsa_system_sgpr_workgroup_id_z 0
		.amdhsa_system_sgpr_workgroup_info 0
		.amdhsa_system_vgpr_workitem_id 0
		.amdhsa_next_free_vgpr 4
		.amdhsa_next_free_sgpr 16
		.amdhsa_reserve_vcc 1
		.amdhsa_float_round_mode_32 0
		.amdhsa_float_round_mode_16_64 0
		.amdhsa_float_denorm_mode_32 3
		.amdhsa_float_denorm_mode_16_64 3
		.amdhsa_dx10_clamp 1
		.amdhsa_ieee_mode 1
		.amdhsa_fp16_overflow 0
		.amdhsa_workgroup_processor_mode 1
		.amdhsa_memory_ordered 1
		.amdhsa_forward_progress 0
		.amdhsa_shared_vgpr_count 0
		.amdhsa_exception_fp_ieee_invalid_op 0
		.amdhsa_exception_fp_denorm_src 0
		.amdhsa_exception_fp_ieee_div_zero 0
		.amdhsa_exception_fp_ieee_overflow 0
		.amdhsa_exception_fp_ieee_underflow 0
		.amdhsa_exception_fp_ieee_inexact 0
		.amdhsa_exception_int_div_zero 0
	.end_amdhsa_kernel
	.section	.text._Z20warp_exchange_kernelILj256ELj1ELj16EN6common18StripedToBlockedOpEiEvPT3_j,"axG",@progbits,_Z20warp_exchange_kernelILj256ELj1ELj16EN6common18StripedToBlockedOpEiEvPT3_j,comdat
.Lfunc_end7:
	.size	_Z20warp_exchange_kernelILj256ELj1ELj16EN6common18StripedToBlockedOpEiEvPT3_j, .Lfunc_end7-_Z20warp_exchange_kernelILj256ELj1ELj16EN6common18StripedToBlockedOpEiEvPT3_j
                                        ; -- End function
	.section	.AMDGPU.csdata,"",@progbits
; Kernel info:
; codeLenInByte = 180
; NumSgprs: 18
; NumVgprs: 4
; ScratchSize: 0
; MemoryBound: 0
; FloatMode: 240
; IeeeMode: 1
; LDSByteSize: 1024 bytes/workgroup (compile time only)
; SGPRBlocks: 2
; VGPRBlocks: 0
; NumSGPRsForWavesPerEU: 18
; NumVGPRsForWavesPerEU: 4
; Occupancy: 16
; WaveLimiterHint : 0
; COMPUTE_PGM_RSRC2:SCRATCH_EN: 0
; COMPUTE_PGM_RSRC2:USER_SGPR: 15
; COMPUTE_PGM_RSRC2:TRAP_HANDLER: 0
; COMPUTE_PGM_RSRC2:TGID_X_EN: 1
; COMPUTE_PGM_RSRC2:TGID_Y_EN: 0
; COMPUTE_PGM_RSRC2:TGID_Z_EN: 0
; COMPUTE_PGM_RSRC2:TIDIG_COMP_CNT: 0
	.section	.text._Z20warp_exchange_kernelILj256ELj1ELj32EN6common18StripedToBlockedOpEiEvPT3_j,"axG",@progbits,_Z20warp_exchange_kernelILj256ELj1ELj32EN6common18StripedToBlockedOpEiEvPT3_j,comdat
	.protected	_Z20warp_exchange_kernelILj256ELj1ELj32EN6common18StripedToBlockedOpEiEvPT3_j ; -- Begin function _Z20warp_exchange_kernelILj256ELj1ELj32EN6common18StripedToBlockedOpEiEvPT3_j
	.globl	_Z20warp_exchange_kernelILj256ELj1ELj32EN6common18StripedToBlockedOpEiEvPT3_j
	.p2align	8
	.type	_Z20warp_exchange_kernelILj256ELj1ELj32EN6common18StripedToBlockedOpEiEvPT3_j,@function
_Z20warp_exchange_kernelILj256ELj1ELj32EN6common18StripedToBlockedOpEiEvPT3_j: ; @_Z20warp_exchange_kernelILj256ELj1ELj32EN6common18StripedToBlockedOpEiEvPT3_j
; %bb.0:
	s_load_b32 s2, s[0:1], 0x8
	s_waitcnt lgkmcnt(0)
	s_cmp_eq_u32 s2, 0
	s_cbranch_scc1 .LBB8_3
; %bb.1:
	v_mbcnt_lo_u32_b32 v1, -1, 0
	v_lshlrev_b32_e32 v2, 2, v0
	s_delay_alu instid0(VALU_DEP_2) | instskip(NEXT) | instid1(VALU_DEP_1)
	v_lshlrev_b32_e32 v1, 2, v1
	v_and_or_b32 v2, 0x380, v2, v1
	v_mov_b32_e32 v1, v0
.LBB8_2:                                ; =>This Inner Loop Header: Depth=1
	s_waitcnt lgkmcnt(0)
	ds_store_b32 v2, v1
	; wave barrier
	ds_load_b32 v1, v2
	s_add_i32 s2, s2, -1
	s_delay_alu instid0(SALU_CYCLE_1)
	s_cmp_lg_u32 s2, 0
	; wave barrier
	s_cbranch_scc1 .LBB8_2
	s_branch .LBB8_4
.LBB8_3:
	v_mov_b32_e32 v1, v0
.LBB8_4:
	s_load_b64 s[0:1], s[0:1], 0x0
	v_lshl_or_b32 v2, s15, 8, v0
	v_mov_b32_e32 v3, 0
	s_delay_alu instid0(VALU_DEP_1) | instskip(SKIP_1) | instid1(VALU_DEP_1)
	v_lshlrev_b64 v[2:3], 2, v[2:3]
	s_waitcnt lgkmcnt(0)
	v_add_co_u32 v2, vcc_lo, s0, v2
	s_delay_alu instid0(VALU_DEP_2)
	v_add_co_ci_u32_e32 v3, vcc_lo, s1, v3, vcc_lo
	global_store_b32 v[2:3], v1, off
	s_nop 0
	s_sendmsg sendmsg(MSG_DEALLOC_VGPRS)
	s_endpgm
	.section	.rodata,"a",@progbits
	.p2align	6, 0x0
	.amdhsa_kernel _Z20warp_exchange_kernelILj256ELj1ELj32EN6common18StripedToBlockedOpEiEvPT3_j
		.amdhsa_group_segment_fixed_size 1024
		.amdhsa_private_segment_fixed_size 0
		.amdhsa_kernarg_size 12
		.amdhsa_user_sgpr_count 15
		.amdhsa_user_sgpr_dispatch_ptr 0
		.amdhsa_user_sgpr_queue_ptr 0
		.amdhsa_user_sgpr_kernarg_segment_ptr 1
		.amdhsa_user_sgpr_dispatch_id 0
		.amdhsa_user_sgpr_private_segment_size 0
		.amdhsa_wavefront_size32 1
		.amdhsa_uses_dynamic_stack 0
		.amdhsa_enable_private_segment 0
		.amdhsa_system_sgpr_workgroup_id_x 1
		.amdhsa_system_sgpr_workgroup_id_y 0
		.amdhsa_system_sgpr_workgroup_id_z 0
		.amdhsa_system_sgpr_workgroup_info 0
		.amdhsa_system_vgpr_workitem_id 0
		.amdhsa_next_free_vgpr 4
		.amdhsa_next_free_sgpr 16
		.amdhsa_reserve_vcc 1
		.amdhsa_float_round_mode_32 0
		.amdhsa_float_round_mode_16_64 0
		.amdhsa_float_denorm_mode_32 3
		.amdhsa_float_denorm_mode_16_64 3
		.amdhsa_dx10_clamp 1
		.amdhsa_ieee_mode 1
		.amdhsa_fp16_overflow 0
		.amdhsa_workgroup_processor_mode 1
		.amdhsa_memory_ordered 1
		.amdhsa_forward_progress 0
		.amdhsa_shared_vgpr_count 0
		.amdhsa_exception_fp_ieee_invalid_op 0
		.amdhsa_exception_fp_denorm_src 0
		.amdhsa_exception_fp_ieee_div_zero 0
		.amdhsa_exception_fp_ieee_overflow 0
		.amdhsa_exception_fp_ieee_underflow 0
		.amdhsa_exception_fp_ieee_inexact 0
		.amdhsa_exception_int_div_zero 0
	.end_amdhsa_kernel
	.section	.text._Z20warp_exchange_kernelILj256ELj1ELj32EN6common18StripedToBlockedOpEiEvPT3_j,"axG",@progbits,_Z20warp_exchange_kernelILj256ELj1ELj32EN6common18StripedToBlockedOpEiEvPT3_j,comdat
.Lfunc_end8:
	.size	_Z20warp_exchange_kernelILj256ELj1ELj32EN6common18StripedToBlockedOpEiEvPT3_j, .Lfunc_end8-_Z20warp_exchange_kernelILj256ELj1ELj32EN6common18StripedToBlockedOpEiEvPT3_j
                                        ; -- End function
	.section	.AMDGPU.csdata,"",@progbits
; Kernel info:
; codeLenInByte = 172
; NumSgprs: 18
; NumVgprs: 4
; ScratchSize: 0
; MemoryBound: 0
; FloatMode: 240
; IeeeMode: 1
; LDSByteSize: 1024 bytes/workgroup (compile time only)
; SGPRBlocks: 2
; VGPRBlocks: 0
; NumSGPRsForWavesPerEU: 18
; NumVGPRsForWavesPerEU: 4
; Occupancy: 16
; WaveLimiterHint : 0
; COMPUTE_PGM_RSRC2:SCRATCH_EN: 0
; COMPUTE_PGM_RSRC2:USER_SGPR: 15
; COMPUTE_PGM_RSRC2:TRAP_HANDLER: 0
; COMPUTE_PGM_RSRC2:TGID_X_EN: 1
; COMPUTE_PGM_RSRC2:TGID_Y_EN: 0
; COMPUTE_PGM_RSRC2:TGID_Z_EN: 0
; COMPUTE_PGM_RSRC2:TIDIG_COMP_CNT: 0
	.section	.text._Z20warp_exchange_kernelILj256ELj4ELj16EN6common18StripedToBlockedOpEiEvPT3_j,"axG",@progbits,_Z20warp_exchange_kernelILj256ELj4ELj16EN6common18StripedToBlockedOpEiEvPT3_j,comdat
	.protected	_Z20warp_exchange_kernelILj256ELj4ELj16EN6common18StripedToBlockedOpEiEvPT3_j ; -- Begin function _Z20warp_exchange_kernelILj256ELj4ELj16EN6common18StripedToBlockedOpEiEvPT3_j
	.globl	_Z20warp_exchange_kernelILj256ELj4ELj16EN6common18StripedToBlockedOpEiEvPT3_j
	.p2align	8
	.type	_Z20warp_exchange_kernelILj256ELj4ELj16EN6common18StripedToBlockedOpEiEvPT3_j,@function
_Z20warp_exchange_kernelILj256ELj4ELj16EN6common18StripedToBlockedOpEiEvPT3_j: ; @_Z20warp_exchange_kernelILj256ELj4ELj16EN6common18StripedToBlockedOpEiEvPT3_j
; %bb.0:
	s_load_b32 s2, s[0:1], 0x8
	v_lshlrev_b32_e32 v4, 2, v0
	s_delay_alu instid0(VALU_DEP_1)
	v_or_b32_e32 v1, 1, v4
	v_or_b32_e32 v2, 2, v4
	;; [unrolled: 1-line block ×3, first 2 shown]
	s_waitcnt lgkmcnt(0)
	s_cmp_eq_u32 s2, 0
	s_cbranch_scc1 .LBB9_3
; %bb.1:
	v_mbcnt_lo_u32_b32 v5, -1, 0
	v_lshlrev_b32_e32 v0, 4, v0
	s_delay_alu instid0(VALU_DEP_2) | instskip(NEXT) | instid1(VALU_DEP_1)
	v_and_b32_e32 v5, 15, v5
	v_lshlrev_b32_e32 v6, 2, v5
	v_mul_u32_u24_e32 v7, 12, v5
	s_delay_alu instid0(VALU_DEP_2) | instskip(SKIP_1) | instid1(VALU_DEP_2)
	v_and_or_b32 v5, 0xf00, v0, v6
	v_mov_b32_e32 v0, v4
	v_add_nc_u32_e32 v6, v5, v7
.LBB9_2:                                ; =>This Inner Loop Header: Depth=1
	s_waitcnt lgkmcnt(0)
	ds_store_2addr_b32 v5, v0, v1 offset1:16
	ds_store_2addr_b32 v5, v2, v3 offset0:32 offset1:48
	; wave barrier
	ds_load_b128 v[0:3], v6
	s_add_i32 s2, s2, -1
	s_delay_alu instid0(SALU_CYCLE_1)
	s_cmp_lg_u32 s2, 0
	; wave barrier
	s_cbranch_scc1 .LBB9_2
	s_branch .LBB9_4
.LBB9_3:
	v_mov_b32_e32 v0, v4
.LBB9_4:
	s_load_b64 s[0:1], s[0:1], 0x0
	v_lshl_or_b32 v4, s15, 10, v4
	v_mov_b32_e32 v5, 0
	s_delay_alu instid0(VALU_DEP_1) | instskip(SKIP_1) | instid1(VALU_DEP_1)
	v_lshlrev_b64 v[4:5], 2, v[4:5]
	s_waitcnt lgkmcnt(0)
	v_add_co_u32 v4, vcc_lo, s0, v4
	s_delay_alu instid0(VALU_DEP_2)
	v_add_co_ci_u32_e32 v5, vcc_lo, s1, v5, vcc_lo
	global_store_b128 v[4:5], v[0:3], off
	s_nop 0
	s_sendmsg sendmsg(MSG_DEALLOC_VGPRS)
	s_endpgm
	.section	.rodata,"a",@progbits
	.p2align	6, 0x0
	.amdhsa_kernel _Z20warp_exchange_kernelILj256ELj4ELj16EN6common18StripedToBlockedOpEiEvPT3_j
		.amdhsa_group_segment_fixed_size 4096
		.amdhsa_private_segment_fixed_size 0
		.amdhsa_kernarg_size 12
		.amdhsa_user_sgpr_count 15
		.amdhsa_user_sgpr_dispatch_ptr 0
		.amdhsa_user_sgpr_queue_ptr 0
		.amdhsa_user_sgpr_kernarg_segment_ptr 1
		.amdhsa_user_sgpr_dispatch_id 0
		.amdhsa_user_sgpr_private_segment_size 0
		.amdhsa_wavefront_size32 1
		.amdhsa_uses_dynamic_stack 0
		.amdhsa_enable_private_segment 0
		.amdhsa_system_sgpr_workgroup_id_x 1
		.amdhsa_system_sgpr_workgroup_id_y 0
		.amdhsa_system_sgpr_workgroup_id_z 0
		.amdhsa_system_sgpr_workgroup_info 0
		.amdhsa_system_vgpr_workitem_id 0
		.amdhsa_next_free_vgpr 8
		.amdhsa_next_free_sgpr 16
		.amdhsa_reserve_vcc 1
		.amdhsa_float_round_mode_32 0
		.amdhsa_float_round_mode_16_64 0
		.amdhsa_float_denorm_mode_32 3
		.amdhsa_float_denorm_mode_16_64 3
		.amdhsa_dx10_clamp 1
		.amdhsa_ieee_mode 1
		.amdhsa_fp16_overflow 0
		.amdhsa_workgroup_processor_mode 1
		.amdhsa_memory_ordered 1
		.amdhsa_forward_progress 0
		.amdhsa_shared_vgpr_count 0
		.amdhsa_exception_fp_ieee_invalid_op 0
		.amdhsa_exception_fp_denorm_src 0
		.amdhsa_exception_fp_ieee_div_zero 0
		.amdhsa_exception_fp_ieee_overflow 0
		.amdhsa_exception_fp_ieee_underflow 0
		.amdhsa_exception_fp_ieee_inexact 0
		.amdhsa_exception_int_div_zero 0
	.end_amdhsa_kernel
	.section	.text._Z20warp_exchange_kernelILj256ELj4ELj16EN6common18StripedToBlockedOpEiEvPT3_j,"axG",@progbits,_Z20warp_exchange_kernelILj256ELj4ELj16EN6common18StripedToBlockedOpEiEvPT3_j,comdat
.Lfunc_end9:
	.size	_Z20warp_exchange_kernelILj256ELj4ELj16EN6common18StripedToBlockedOpEiEvPT3_j, .Lfunc_end9-_Z20warp_exchange_kernelILj256ELj4ELj16EN6common18StripedToBlockedOpEiEvPT3_j
                                        ; -- End function
	.section	.AMDGPU.csdata,"",@progbits
; Kernel info:
; codeLenInByte = 216
; NumSgprs: 18
; NumVgprs: 8
; ScratchSize: 0
; MemoryBound: 0
; FloatMode: 240
; IeeeMode: 1
; LDSByteSize: 4096 bytes/workgroup (compile time only)
; SGPRBlocks: 2
; VGPRBlocks: 0
; NumSGPRsForWavesPerEU: 18
; NumVGPRsForWavesPerEU: 8
; Occupancy: 16
; WaveLimiterHint : 0
; COMPUTE_PGM_RSRC2:SCRATCH_EN: 0
; COMPUTE_PGM_RSRC2:USER_SGPR: 15
; COMPUTE_PGM_RSRC2:TRAP_HANDLER: 0
; COMPUTE_PGM_RSRC2:TGID_X_EN: 1
; COMPUTE_PGM_RSRC2:TGID_Y_EN: 0
; COMPUTE_PGM_RSRC2:TGID_Z_EN: 0
; COMPUTE_PGM_RSRC2:TIDIG_COMP_CNT: 0
	.section	.text._Z20warp_exchange_kernelILj256ELj4ELj32EN6common18StripedToBlockedOpEiEvPT3_j,"axG",@progbits,_Z20warp_exchange_kernelILj256ELj4ELj32EN6common18StripedToBlockedOpEiEvPT3_j,comdat
	.protected	_Z20warp_exchange_kernelILj256ELj4ELj32EN6common18StripedToBlockedOpEiEvPT3_j ; -- Begin function _Z20warp_exchange_kernelILj256ELj4ELj32EN6common18StripedToBlockedOpEiEvPT3_j
	.globl	_Z20warp_exchange_kernelILj256ELj4ELj32EN6common18StripedToBlockedOpEiEvPT3_j
	.p2align	8
	.type	_Z20warp_exchange_kernelILj256ELj4ELj32EN6common18StripedToBlockedOpEiEvPT3_j,@function
_Z20warp_exchange_kernelILj256ELj4ELj32EN6common18StripedToBlockedOpEiEvPT3_j: ; @_Z20warp_exchange_kernelILj256ELj4ELj32EN6common18StripedToBlockedOpEiEvPT3_j
; %bb.0:
	s_load_b32 s2, s[0:1], 0x8
	v_lshlrev_b32_e32 v4, 2, v0
	s_delay_alu instid0(VALU_DEP_1)
	v_or_b32_e32 v1, 1, v4
	v_or_b32_e32 v2, 2, v4
	;; [unrolled: 1-line block ×3, first 2 shown]
	s_waitcnt lgkmcnt(0)
	s_cmp_eq_u32 s2, 0
	s_cbranch_scc1 .LBB10_3
; %bb.1:
	v_lshlrev_b32_e32 v0, 4, v0
	v_mbcnt_lo_u32_b32 v6, -1, 0
	s_delay_alu instid0(VALU_DEP_2) | instskip(NEXT) | instid1(VALU_DEP_1)
	v_and_b32_e32 v0, 0xe00, v0
	v_lshl_or_b32 v5, v6, 2, v0
	v_lshl_or_b32 v6, v6, 4, v0
	v_mov_b32_e32 v0, v4
.LBB10_2:                               ; =>This Inner Loop Header: Depth=1
	s_waitcnt lgkmcnt(0)
	ds_store_2addr_b32 v5, v0, v1 offset1:32
	ds_store_2addr_b32 v5, v2, v3 offset0:64 offset1:96
	; wave barrier
	ds_load_b128 v[0:3], v6
	s_add_i32 s2, s2, -1
	s_delay_alu instid0(SALU_CYCLE_1)
	s_cmp_lg_u32 s2, 0
	; wave barrier
	s_cbranch_scc1 .LBB10_2
	s_branch .LBB10_4
.LBB10_3:
	v_mov_b32_e32 v0, v4
.LBB10_4:
	s_load_b64 s[0:1], s[0:1], 0x0
	v_lshl_or_b32 v4, s15, 10, v4
	v_mov_b32_e32 v5, 0
	s_delay_alu instid0(VALU_DEP_1) | instskip(SKIP_1) | instid1(VALU_DEP_1)
	v_lshlrev_b64 v[4:5], 2, v[4:5]
	s_waitcnt lgkmcnt(0)
	v_add_co_u32 v4, vcc_lo, s0, v4
	s_delay_alu instid0(VALU_DEP_2)
	v_add_co_ci_u32_e32 v5, vcc_lo, s1, v5, vcc_lo
	global_store_b128 v[4:5], v[0:3], off
	s_nop 0
	s_sendmsg sendmsg(MSG_DEALLOC_VGPRS)
	s_endpgm
	.section	.rodata,"a",@progbits
	.p2align	6, 0x0
	.amdhsa_kernel _Z20warp_exchange_kernelILj256ELj4ELj32EN6common18StripedToBlockedOpEiEvPT3_j
		.amdhsa_group_segment_fixed_size 4096
		.amdhsa_private_segment_fixed_size 0
		.amdhsa_kernarg_size 12
		.amdhsa_user_sgpr_count 15
		.amdhsa_user_sgpr_dispatch_ptr 0
		.amdhsa_user_sgpr_queue_ptr 0
		.amdhsa_user_sgpr_kernarg_segment_ptr 1
		.amdhsa_user_sgpr_dispatch_id 0
		.amdhsa_user_sgpr_private_segment_size 0
		.amdhsa_wavefront_size32 1
		.amdhsa_uses_dynamic_stack 0
		.amdhsa_enable_private_segment 0
		.amdhsa_system_sgpr_workgroup_id_x 1
		.amdhsa_system_sgpr_workgroup_id_y 0
		.amdhsa_system_sgpr_workgroup_id_z 0
		.amdhsa_system_sgpr_workgroup_info 0
		.amdhsa_system_vgpr_workitem_id 0
		.amdhsa_next_free_vgpr 7
		.amdhsa_next_free_sgpr 16
		.amdhsa_reserve_vcc 1
		.amdhsa_float_round_mode_32 0
		.amdhsa_float_round_mode_16_64 0
		.amdhsa_float_denorm_mode_32 3
		.amdhsa_float_denorm_mode_16_64 3
		.amdhsa_dx10_clamp 1
		.amdhsa_ieee_mode 1
		.amdhsa_fp16_overflow 0
		.amdhsa_workgroup_processor_mode 1
		.amdhsa_memory_ordered 1
		.amdhsa_forward_progress 0
		.amdhsa_shared_vgpr_count 0
		.amdhsa_exception_fp_ieee_invalid_op 0
		.amdhsa_exception_fp_denorm_src 0
		.amdhsa_exception_fp_ieee_div_zero 0
		.amdhsa_exception_fp_ieee_overflow 0
		.amdhsa_exception_fp_ieee_underflow 0
		.amdhsa_exception_fp_ieee_inexact 0
		.amdhsa_exception_int_div_zero 0
	.end_amdhsa_kernel
	.section	.text._Z20warp_exchange_kernelILj256ELj4ELj32EN6common18StripedToBlockedOpEiEvPT3_j,"axG",@progbits,_Z20warp_exchange_kernelILj256ELj4ELj32EN6common18StripedToBlockedOpEiEvPT3_j,comdat
.Lfunc_end10:
	.size	_Z20warp_exchange_kernelILj256ELj4ELj32EN6common18StripedToBlockedOpEiEvPT3_j, .Lfunc_end10-_Z20warp_exchange_kernelILj256ELj4ELj32EN6common18StripedToBlockedOpEiEvPT3_j
                                        ; -- End function
	.section	.AMDGPU.csdata,"",@progbits
; Kernel info:
; codeLenInByte = 208
; NumSgprs: 18
; NumVgprs: 7
; ScratchSize: 0
; MemoryBound: 0
; FloatMode: 240
; IeeeMode: 1
; LDSByteSize: 4096 bytes/workgroup (compile time only)
; SGPRBlocks: 2
; VGPRBlocks: 0
; NumSGPRsForWavesPerEU: 18
; NumVGPRsForWavesPerEU: 7
; Occupancy: 16
; WaveLimiterHint : 0
; COMPUTE_PGM_RSRC2:SCRATCH_EN: 0
; COMPUTE_PGM_RSRC2:USER_SGPR: 15
; COMPUTE_PGM_RSRC2:TRAP_HANDLER: 0
; COMPUTE_PGM_RSRC2:TGID_X_EN: 1
; COMPUTE_PGM_RSRC2:TGID_Y_EN: 0
; COMPUTE_PGM_RSRC2:TGID_Z_EN: 0
; COMPUTE_PGM_RSRC2:TIDIG_COMP_CNT: 0
	.section	.text._Z20warp_exchange_kernelILj256ELj16ELj16EN6common18StripedToBlockedOpEiEvPT3_j,"axG",@progbits,_Z20warp_exchange_kernelILj256ELj16ELj16EN6common18StripedToBlockedOpEiEvPT3_j,comdat
	.protected	_Z20warp_exchange_kernelILj256ELj16ELj16EN6common18StripedToBlockedOpEiEvPT3_j ; -- Begin function _Z20warp_exchange_kernelILj256ELj16ELj16EN6common18StripedToBlockedOpEiEvPT3_j
	.globl	_Z20warp_exchange_kernelILj256ELj16ELj16EN6common18StripedToBlockedOpEiEvPT3_j
	.p2align	8
	.type	_Z20warp_exchange_kernelILj256ELj16ELj16EN6common18StripedToBlockedOpEiEvPT3_j,@function
_Z20warp_exchange_kernelILj256ELj16ELj16EN6common18StripedToBlockedOpEiEvPT3_j: ; @_Z20warp_exchange_kernelILj256ELj16ELj16EN6common18StripedToBlockedOpEiEvPT3_j
; %bb.0:
	s_load_b32 s2, s[0:1], 0x8
	v_lshlrev_b32_e32 v17, 4, v0
	s_delay_alu instid0(VALU_DEP_1)
	v_or_b32_e32 v14, 1, v17
	v_or_b32_e32 v15, 2, v17
	;; [unrolled: 1-line block ×15, first 2 shown]
	s_waitcnt lgkmcnt(0)
	s_cmp_eq_u32 s2, 0
	s_cbranch_scc1 .LBB11_3
; %bb.1:
	v_mbcnt_lo_u32_b32 v13, -1, 0
	v_lshlrev_b32_e32 v0, 6, v0
	s_delay_alu instid0(VALU_DEP_2) | instskip(NEXT) | instid1(VALU_DEP_1)
	v_and_b32_e32 v13, 15, v13
	v_lshlrev_b32_e32 v18, 2, v13
	v_mul_u32_u24_e32 v13, 60, v13
	s_delay_alu instid0(VALU_DEP_2) | instskip(NEXT) | instid1(VALU_DEP_1)
	v_and_or_b32 v0, 0x3c00, v0, v18
	v_dual_mov_b32 v13, v17 :: v_dual_add_nc_u32 v18, v0, v13
	.p2align	6
.LBB11_2:                               ; =>This Inner Loop Header: Depth=1
	s_waitcnt lgkmcnt(3)
	ds_store_2addr_b32 v0, v13, v14 offset1:16
	ds_store_2addr_b32 v0, v15, v16 offset0:32 offset1:48
	s_waitcnt lgkmcnt(4)
	ds_store_2addr_b32 v0, v9, v10 offset0:64 offset1:80
	ds_store_2addr_b32 v0, v11, v12 offset0:96 offset1:112
	s_waitcnt lgkmcnt(5)
	ds_store_2addr_b32 v0, v5, v6 offset0:128 offset1:144
	;; [unrolled: 3-line block ×3, first 2 shown]
	ds_store_2addr_b32 v0, v3, v4 offset0:224 offset1:240
	; wave barrier
	ds_load_b128 v[13:16], v18
	ds_load_b128 v[9:12], v18 offset:16
	ds_load_b128 v[5:8], v18 offset:32
	;; [unrolled: 1-line block ×3, first 2 shown]
	s_add_i32 s2, s2, -1
	s_delay_alu instid0(SALU_CYCLE_1)
	s_cmp_lg_u32 s2, 0
	; wave barrier
	s_cbranch_scc1 .LBB11_2
	s_branch .LBB11_4
.LBB11_3:
	v_mov_b32_e32 v13, v17
.LBB11_4:
	s_load_b64 s[0:1], s[0:1], 0x0
	v_lshl_or_b32 v17, s15, 12, v17
	v_mov_b32_e32 v18, 0
	s_delay_alu instid0(VALU_DEP_1) | instskip(SKIP_1) | instid1(VALU_DEP_1)
	v_lshlrev_b64 v[17:18], 2, v[17:18]
	s_waitcnt lgkmcnt(0)
	v_add_co_u32 v17, vcc_lo, s0, v17
	s_delay_alu instid0(VALU_DEP_2)
	v_add_co_ci_u32_e32 v18, vcc_lo, s1, v18, vcc_lo
	s_clause 0x3
	global_store_b128 v[17:18], v[13:16], off
	global_store_b128 v[17:18], v[9:12], off offset:16
	global_store_b128 v[17:18], v[5:8], off offset:32
	global_store_b128 v[17:18], v[1:4], off offset:48
	s_nop 0
	s_sendmsg sendmsg(MSG_DEALLOC_VGPRS)
	s_endpgm
	.section	.rodata,"a",@progbits
	.p2align	6, 0x0
	.amdhsa_kernel _Z20warp_exchange_kernelILj256ELj16ELj16EN6common18StripedToBlockedOpEiEvPT3_j
		.amdhsa_group_segment_fixed_size 16384
		.amdhsa_private_segment_fixed_size 0
		.amdhsa_kernarg_size 12
		.amdhsa_user_sgpr_count 15
		.amdhsa_user_sgpr_dispatch_ptr 0
		.amdhsa_user_sgpr_queue_ptr 0
		.amdhsa_user_sgpr_kernarg_segment_ptr 1
		.amdhsa_user_sgpr_dispatch_id 0
		.amdhsa_user_sgpr_private_segment_size 0
		.amdhsa_wavefront_size32 1
		.amdhsa_uses_dynamic_stack 0
		.amdhsa_enable_private_segment 0
		.amdhsa_system_sgpr_workgroup_id_x 1
		.amdhsa_system_sgpr_workgroup_id_y 0
		.amdhsa_system_sgpr_workgroup_id_z 0
		.amdhsa_system_sgpr_workgroup_info 0
		.amdhsa_system_vgpr_workitem_id 0
		.amdhsa_next_free_vgpr 19
		.amdhsa_next_free_sgpr 16
		.amdhsa_reserve_vcc 1
		.amdhsa_float_round_mode_32 0
		.amdhsa_float_round_mode_16_64 0
		.amdhsa_float_denorm_mode_32 3
		.amdhsa_float_denorm_mode_16_64 3
		.amdhsa_dx10_clamp 1
		.amdhsa_ieee_mode 1
		.amdhsa_fp16_overflow 0
		.amdhsa_workgroup_processor_mode 1
		.amdhsa_memory_ordered 1
		.amdhsa_forward_progress 0
		.amdhsa_shared_vgpr_count 0
		.amdhsa_exception_fp_ieee_invalid_op 0
		.amdhsa_exception_fp_denorm_src 0
		.amdhsa_exception_fp_ieee_div_zero 0
		.amdhsa_exception_fp_ieee_overflow 0
		.amdhsa_exception_fp_ieee_underflow 0
		.amdhsa_exception_fp_ieee_inexact 0
		.amdhsa_exception_int_div_zero 0
	.end_amdhsa_kernel
	.section	.text._Z20warp_exchange_kernelILj256ELj16ELj16EN6common18StripedToBlockedOpEiEvPT3_j,"axG",@progbits,_Z20warp_exchange_kernelILj256ELj16ELj16EN6common18StripedToBlockedOpEiEvPT3_j,comdat
.Lfunc_end11:
	.size	_Z20warp_exchange_kernelILj256ELj16ELj16EN6common18StripedToBlockedOpEiEvPT3_j, .Lfunc_end11-_Z20warp_exchange_kernelILj256ELj16ELj16EN6common18StripedToBlockedOpEiEvPT3_j
                                        ; -- End function
	.section	.AMDGPU.csdata,"",@progbits
; Kernel info:
; codeLenInByte = 376
; NumSgprs: 18
; NumVgprs: 19
; ScratchSize: 0
; MemoryBound: 0
; FloatMode: 240
; IeeeMode: 1
; LDSByteSize: 16384 bytes/workgroup (compile time only)
; SGPRBlocks: 2
; VGPRBlocks: 2
; NumSGPRsForWavesPerEU: 18
; NumVGPRsForWavesPerEU: 19
; Occupancy: 16
; WaveLimiterHint : 0
; COMPUTE_PGM_RSRC2:SCRATCH_EN: 0
; COMPUTE_PGM_RSRC2:USER_SGPR: 15
; COMPUTE_PGM_RSRC2:TRAP_HANDLER: 0
; COMPUTE_PGM_RSRC2:TGID_X_EN: 1
; COMPUTE_PGM_RSRC2:TGID_Y_EN: 0
; COMPUTE_PGM_RSRC2:TGID_Z_EN: 0
; COMPUTE_PGM_RSRC2:TIDIG_COMP_CNT: 0
	.section	.text._Z20warp_exchange_kernelILj256ELj16ELj32EN6common18StripedToBlockedOpEiEvPT3_j,"axG",@progbits,_Z20warp_exchange_kernelILj256ELj16ELj32EN6common18StripedToBlockedOpEiEvPT3_j,comdat
	.protected	_Z20warp_exchange_kernelILj256ELj16ELj32EN6common18StripedToBlockedOpEiEvPT3_j ; -- Begin function _Z20warp_exchange_kernelILj256ELj16ELj32EN6common18StripedToBlockedOpEiEvPT3_j
	.globl	_Z20warp_exchange_kernelILj256ELj16ELj32EN6common18StripedToBlockedOpEiEvPT3_j
	.p2align	8
	.type	_Z20warp_exchange_kernelILj256ELj16ELj32EN6common18StripedToBlockedOpEiEvPT3_j,@function
_Z20warp_exchange_kernelILj256ELj16ELj32EN6common18StripedToBlockedOpEiEvPT3_j: ; @_Z20warp_exchange_kernelILj256ELj16ELj32EN6common18StripedToBlockedOpEiEvPT3_j
; %bb.0:
	s_load_b32 s2, s[0:1], 0x8
	v_lshlrev_b32_e32 v17, 4, v0
	s_delay_alu instid0(VALU_DEP_1)
	v_or_b32_e32 v14, 1, v17
	v_or_b32_e32 v15, 2, v17
	;; [unrolled: 1-line block ×15, first 2 shown]
	s_waitcnt lgkmcnt(0)
	s_cmp_eq_u32 s2, 0
	s_cbranch_scc1 .LBB12_3
; %bb.1:
	v_lshlrev_b32_e32 v0, 6, v0
	v_mbcnt_lo_u32_b32 v13, -1, 0
	s_delay_alu instid0(VALU_DEP_2) | instskip(NEXT) | instid1(VALU_DEP_1)
	v_and_b32_e32 v18, 0x3800, v0
	v_lshl_or_b32 v0, v13, 2, v18
	v_lshl_or_b32 v18, v13, 6, v18
	v_mov_b32_e32 v13, v17
	s_delay_alu instid0(VALU_DEP_3)
	v_add_nc_u32_e32 v19, 0x400, v0
	.p2align	6
.LBB12_2:                               ; =>This Inner Loop Header: Depth=1
	s_waitcnt lgkmcnt(3)
	ds_store_2addr_b32 v0, v13, v14 offset1:32
	ds_store_2addr_b32 v0, v15, v16 offset0:64 offset1:96
	s_waitcnt lgkmcnt(4)
	ds_store_2addr_b32 v0, v9, v10 offset0:128 offset1:160
	ds_store_2addr_b32 v0, v11, v12 offset0:192 offset1:224
	s_waitcnt lgkmcnt(5)
	ds_store_2addr_b32 v19, v5, v6 offset1:32
	ds_store_2addr_b32 v19, v7, v8 offset0:64 offset1:96
	s_waitcnt lgkmcnt(6)
	ds_store_2addr_b32 v19, v1, v2 offset0:128 offset1:160
	ds_store_2addr_b32 v19, v3, v4 offset0:192 offset1:224
	; wave barrier
	ds_load_b128 v[13:16], v18
	ds_load_b128 v[9:12], v18 offset:16
	ds_load_b128 v[5:8], v18 offset:32
	;; [unrolled: 1-line block ×3, first 2 shown]
	s_add_i32 s2, s2, -1
	s_delay_alu instid0(SALU_CYCLE_1)
	s_cmp_lg_u32 s2, 0
	; wave barrier
	s_cbranch_scc1 .LBB12_2
	s_branch .LBB12_4
.LBB12_3:
	v_mov_b32_e32 v13, v17
.LBB12_4:
	s_load_b64 s[0:1], s[0:1], 0x0
	v_lshl_or_b32 v17, s15, 12, v17
	v_mov_b32_e32 v18, 0
	s_delay_alu instid0(VALU_DEP_1) | instskip(SKIP_1) | instid1(VALU_DEP_1)
	v_lshlrev_b64 v[17:18], 2, v[17:18]
	s_waitcnt lgkmcnt(0)
	v_add_co_u32 v17, vcc_lo, s0, v17
	s_delay_alu instid0(VALU_DEP_2)
	v_add_co_ci_u32_e32 v18, vcc_lo, s1, v18, vcc_lo
	s_clause 0x3
	global_store_b128 v[17:18], v[13:16], off
	global_store_b128 v[17:18], v[9:12], off offset:16
	global_store_b128 v[17:18], v[5:8], off offset:32
	;; [unrolled: 1-line block ×3, first 2 shown]
	s_nop 0
	s_sendmsg sendmsg(MSG_DEALLOC_VGPRS)
	s_endpgm
	.section	.rodata,"a",@progbits
	.p2align	6, 0x0
	.amdhsa_kernel _Z20warp_exchange_kernelILj256ELj16ELj32EN6common18StripedToBlockedOpEiEvPT3_j
		.amdhsa_group_segment_fixed_size 16384
		.amdhsa_private_segment_fixed_size 0
		.amdhsa_kernarg_size 12
		.amdhsa_user_sgpr_count 15
		.amdhsa_user_sgpr_dispatch_ptr 0
		.amdhsa_user_sgpr_queue_ptr 0
		.amdhsa_user_sgpr_kernarg_segment_ptr 1
		.amdhsa_user_sgpr_dispatch_id 0
		.amdhsa_user_sgpr_private_segment_size 0
		.amdhsa_wavefront_size32 1
		.amdhsa_uses_dynamic_stack 0
		.amdhsa_enable_private_segment 0
		.amdhsa_system_sgpr_workgroup_id_x 1
		.amdhsa_system_sgpr_workgroup_id_y 0
		.amdhsa_system_sgpr_workgroup_id_z 0
		.amdhsa_system_sgpr_workgroup_info 0
		.amdhsa_system_vgpr_workitem_id 0
		.amdhsa_next_free_vgpr 20
		.amdhsa_next_free_sgpr 16
		.amdhsa_reserve_vcc 1
		.amdhsa_float_round_mode_32 0
		.amdhsa_float_round_mode_16_64 0
		.amdhsa_float_denorm_mode_32 3
		.amdhsa_float_denorm_mode_16_64 3
		.amdhsa_dx10_clamp 1
		.amdhsa_ieee_mode 1
		.amdhsa_fp16_overflow 0
		.amdhsa_workgroup_processor_mode 1
		.amdhsa_memory_ordered 1
		.amdhsa_forward_progress 0
		.amdhsa_shared_vgpr_count 0
		.amdhsa_exception_fp_ieee_invalid_op 0
		.amdhsa_exception_fp_denorm_src 0
		.amdhsa_exception_fp_ieee_div_zero 0
		.amdhsa_exception_fp_ieee_overflow 0
		.amdhsa_exception_fp_ieee_underflow 0
		.amdhsa_exception_fp_ieee_inexact 0
		.amdhsa_exception_int_div_zero 0
	.end_amdhsa_kernel
	.section	.text._Z20warp_exchange_kernelILj256ELj16ELj32EN6common18StripedToBlockedOpEiEvPT3_j,"axG",@progbits,_Z20warp_exchange_kernelILj256ELj16ELj32EN6common18StripedToBlockedOpEiEvPT3_j,comdat
.Lfunc_end12:
	.size	_Z20warp_exchange_kernelILj256ELj16ELj32EN6common18StripedToBlockedOpEiEvPT3_j, .Lfunc_end12-_Z20warp_exchange_kernelILj256ELj16ELj32EN6common18StripedToBlockedOpEiEvPT3_j
                                        ; -- End function
	.section	.AMDGPU.csdata,"",@progbits
; Kernel info:
; codeLenInByte = 380
; NumSgprs: 18
; NumVgprs: 20
; ScratchSize: 0
; MemoryBound: 0
; FloatMode: 240
; IeeeMode: 1
; LDSByteSize: 16384 bytes/workgroup (compile time only)
; SGPRBlocks: 2
; VGPRBlocks: 2
; NumSGPRsForWavesPerEU: 18
; NumVGPRsForWavesPerEU: 20
; Occupancy: 16
; WaveLimiterHint : 0
; COMPUTE_PGM_RSRC2:SCRATCH_EN: 0
; COMPUTE_PGM_RSRC2:USER_SGPR: 15
; COMPUTE_PGM_RSRC2:TRAP_HANDLER: 0
; COMPUTE_PGM_RSRC2:TGID_X_EN: 1
; COMPUTE_PGM_RSRC2:TGID_Y_EN: 0
; COMPUTE_PGM_RSRC2:TGID_Z_EN: 0
; COMPUTE_PGM_RSRC2:TIDIG_COMP_CNT: 0
	.section	.text._Z20warp_exchange_kernelILj256ELj32ELj32EN6common18StripedToBlockedOpEiEvPT3_j,"axG",@progbits,_Z20warp_exchange_kernelILj256ELj32ELj32EN6common18StripedToBlockedOpEiEvPT3_j,comdat
	.protected	_Z20warp_exchange_kernelILj256ELj32ELj32EN6common18StripedToBlockedOpEiEvPT3_j ; -- Begin function _Z20warp_exchange_kernelILj256ELj32ELj32EN6common18StripedToBlockedOpEiEvPT3_j
	.globl	_Z20warp_exchange_kernelILj256ELj32ELj32EN6common18StripedToBlockedOpEiEvPT3_j
	.p2align	8
	.type	_Z20warp_exchange_kernelILj256ELj32ELj32EN6common18StripedToBlockedOpEiEvPT3_j,@function
_Z20warp_exchange_kernelILj256ELj32ELj32EN6common18StripedToBlockedOpEiEvPT3_j: ; @_Z20warp_exchange_kernelILj256ELj32ELj32EN6common18StripedToBlockedOpEiEvPT3_j
; %bb.0:
	s_load_b32 s2, s[0:1], 0x8
	v_lshlrev_b32_e32 v33, 5, v0
	s_delay_alu instid0(VALU_DEP_1)
	v_or_b32_e32 v14, 1, v33
	v_or_b32_e32 v15, 2, v33
	;; [unrolled: 1-line block ×31, first 2 shown]
	s_waitcnt lgkmcnt(0)
	s_cmp_eq_u32 s2, 0
	s_cbranch_scc1 .LBB13_3
; %bb.1:
	v_lshlrev_b32_e32 v0, 7, v0
	v_mbcnt_lo_u32_b32 v13, -1, 0
	s_delay_alu instid0(VALU_DEP_2) | instskip(NEXT) | instid1(VALU_DEP_1)
	v_and_b32_e32 v34, 0x7000, v0
	v_lshl_or_b32 v0, v13, 2, v34
	v_lshl_or_b32 v34, v13, 7, v34
	v_mov_b32_e32 v13, v33
	s_delay_alu instid0(VALU_DEP_3)
	v_add_nc_u32_e32 v35, 0x400, v0
	v_add_nc_u32_e32 v36, 0x800, v0
	;; [unrolled: 1-line block ×3, first 2 shown]
.LBB13_2:                               ; =>This Inner Loop Header: Depth=1
	s_waitcnt lgkmcnt(7)
	ds_store_2addr_b32 v0, v13, v14 offset1:32
	ds_store_2addr_b32 v0, v15, v16 offset0:64 offset1:96
	s_waitcnt lgkmcnt(8)
	ds_store_2addr_b32 v0, v9, v10 offset0:128 offset1:160
	ds_store_2addr_b32 v0, v11, v12 offset0:192 offset1:224
	s_waitcnt lgkmcnt(9)
	ds_store_2addr_b32 v35, v5, v6 offset1:32
	ds_store_2addr_b32 v35, v7, v8 offset0:64 offset1:96
	s_waitcnt lgkmcnt(10)
	ds_store_2addr_b32 v35, v1, v2 offset0:128 offset1:160
	ds_store_2addr_b32 v35, v3, v4 offset0:192 offset1:224
	;; [unrolled: 6-line block ×4, first 2 shown]
	; wave barrier
	ds_load_b128 v[13:16], v34
	ds_load_b128 v[9:12], v34 offset:16
	ds_load_b128 v[5:8], v34 offset:32
	;; [unrolled: 1-line block ×7, first 2 shown]
	s_add_i32 s2, s2, -1
	s_delay_alu instid0(SALU_CYCLE_1)
	s_cmp_lg_u32 s2, 0
	; wave barrier
	s_cbranch_scc1 .LBB13_2
	s_branch .LBB13_4
.LBB13_3:
	v_mov_b32_e32 v13, v33
.LBB13_4:
	s_load_b64 s[0:1], s[0:1], 0x0
	v_lshl_or_b32 v33, s15, 13, v33
	v_mov_b32_e32 v34, 0
	s_delay_alu instid0(VALU_DEP_1) | instskip(SKIP_1) | instid1(VALU_DEP_1)
	v_lshlrev_b64 v[33:34], 2, v[33:34]
	s_waitcnt lgkmcnt(0)
	v_add_co_u32 v33, vcc_lo, s0, v33
	s_delay_alu instid0(VALU_DEP_2)
	v_add_co_ci_u32_e32 v34, vcc_lo, s1, v34, vcc_lo
	s_clause 0x7
	global_store_b128 v[33:34], v[13:16], off
	global_store_b128 v[33:34], v[9:12], off offset:16
	global_store_b128 v[33:34], v[5:8], off offset:32
	;; [unrolled: 1-line block ×7, first 2 shown]
	s_nop 0
	s_sendmsg sendmsg(MSG_DEALLOC_VGPRS)
	s_endpgm
	.section	.rodata,"a",@progbits
	.p2align	6, 0x0
	.amdhsa_kernel _Z20warp_exchange_kernelILj256ELj32ELj32EN6common18StripedToBlockedOpEiEvPT3_j
		.amdhsa_group_segment_fixed_size 32768
		.amdhsa_private_segment_fixed_size 0
		.amdhsa_kernarg_size 12
		.amdhsa_user_sgpr_count 15
		.amdhsa_user_sgpr_dispatch_ptr 0
		.amdhsa_user_sgpr_queue_ptr 0
		.amdhsa_user_sgpr_kernarg_segment_ptr 1
		.amdhsa_user_sgpr_dispatch_id 0
		.amdhsa_user_sgpr_private_segment_size 0
		.amdhsa_wavefront_size32 1
		.amdhsa_uses_dynamic_stack 0
		.amdhsa_enable_private_segment 0
		.amdhsa_system_sgpr_workgroup_id_x 1
		.amdhsa_system_sgpr_workgroup_id_y 0
		.amdhsa_system_sgpr_workgroup_id_z 0
		.amdhsa_system_sgpr_workgroup_info 0
		.amdhsa_system_vgpr_workitem_id 0
		.amdhsa_next_free_vgpr 38
		.amdhsa_next_free_sgpr 16
		.amdhsa_reserve_vcc 1
		.amdhsa_float_round_mode_32 0
		.amdhsa_float_round_mode_16_64 0
		.amdhsa_float_denorm_mode_32 3
		.amdhsa_float_denorm_mode_16_64 3
		.amdhsa_dx10_clamp 1
		.amdhsa_ieee_mode 1
		.amdhsa_fp16_overflow 0
		.amdhsa_workgroup_processor_mode 1
		.amdhsa_memory_ordered 1
		.amdhsa_forward_progress 0
		.amdhsa_shared_vgpr_count 0
		.amdhsa_exception_fp_ieee_invalid_op 0
		.amdhsa_exception_fp_denorm_src 0
		.amdhsa_exception_fp_ieee_div_zero 0
		.amdhsa_exception_fp_ieee_overflow 0
		.amdhsa_exception_fp_ieee_underflow 0
		.amdhsa_exception_fp_ieee_inexact 0
		.amdhsa_exception_int_div_zero 0
	.end_amdhsa_kernel
	.section	.text._Z20warp_exchange_kernelILj256ELj32ELj32EN6common18StripedToBlockedOpEiEvPT3_j,"axG",@progbits,_Z20warp_exchange_kernelILj256ELj32ELj32EN6common18StripedToBlockedOpEiEvPT3_j,comdat
.Lfunc_end13:
	.size	_Z20warp_exchange_kernelILj256ELj32ELj32EN6common18StripedToBlockedOpEiEvPT3_j, .Lfunc_end13-_Z20warp_exchange_kernelILj256ELj32ELj32EN6common18StripedToBlockedOpEiEvPT3_j
                                        ; -- End function
	.section	.AMDGPU.csdata,"",@progbits
; Kernel info:
; codeLenInByte = 604
; NumSgprs: 18
; NumVgprs: 38
; ScratchSize: 0
; MemoryBound: 0
; FloatMode: 240
; IeeeMode: 1
; LDSByteSize: 32768 bytes/workgroup (compile time only)
; SGPRBlocks: 2
; VGPRBlocks: 4
; NumSGPRsForWavesPerEU: 18
; NumVGPRsForWavesPerEU: 38
; Occupancy: 8
; WaveLimiterHint : 0
; COMPUTE_PGM_RSRC2:SCRATCH_EN: 0
; COMPUTE_PGM_RSRC2:USER_SGPR: 15
; COMPUTE_PGM_RSRC2:TRAP_HANDLER: 0
; COMPUTE_PGM_RSRC2:TGID_X_EN: 1
; COMPUTE_PGM_RSRC2:TGID_Y_EN: 0
; COMPUTE_PGM_RSRC2:TGID_Z_EN: 0
; COMPUTE_PGM_RSRC2:TIDIG_COMP_CNT: 0
	.section	.text._Z20warp_exchange_kernelILj256ELj1ELj16EN6common25BlockedToStripedShuffleOpEiEvPT3_j,"axG",@progbits,_Z20warp_exchange_kernelILj256ELj1ELj16EN6common25BlockedToStripedShuffleOpEiEvPT3_j,comdat
	.protected	_Z20warp_exchange_kernelILj256ELj1ELj16EN6common25BlockedToStripedShuffleOpEiEvPT3_j ; -- Begin function _Z20warp_exchange_kernelILj256ELj1ELj16EN6common25BlockedToStripedShuffleOpEiEvPT3_j
	.globl	_Z20warp_exchange_kernelILj256ELj1ELj16EN6common25BlockedToStripedShuffleOpEiEvPT3_j
	.p2align	8
	.type	_Z20warp_exchange_kernelILj256ELj1ELj16EN6common25BlockedToStripedShuffleOpEiEvPT3_j,@function
_Z20warp_exchange_kernelILj256ELj1ELj16EN6common25BlockedToStripedShuffleOpEiEvPT3_j: ; @_Z20warp_exchange_kernelILj256ELj1ELj16EN6common25BlockedToStripedShuffleOpEiEvPT3_j
; %bb.0:
	s_load_b32 s2, s[0:1], 0x8
	s_waitcnt lgkmcnt(0)
	s_cmp_eq_u32 s2, 0
	s_cbranch_scc1 .LBB14_3
; %bb.1:
	v_mbcnt_lo_u32_b32 v1, -1, 0
	s_delay_alu instid0(VALU_DEP_1)
	v_dual_mov_b32 v1, v0 :: v_dual_lshlrev_b32 v2, 2, v1
.LBB14_2:                               ; =>This Inner Loop Header: Depth=1
	s_waitcnt lgkmcnt(0)
	ds_bpermute_b32 v1, v2, v1
	s_add_i32 s2, s2, -1
	s_delay_alu instid0(SALU_CYCLE_1)
	s_cmp_lg_u32 s2, 0
	; wave barrier
	s_cbranch_scc1 .LBB14_2
	s_branch .LBB14_4
.LBB14_3:
	v_mov_b32_e32 v1, v0
.LBB14_4:
	s_load_b64 s[0:1], s[0:1], 0x0
	v_lshl_or_b32 v2, s15, 8, v0
	v_mov_b32_e32 v3, 0
	s_delay_alu instid0(VALU_DEP_1) | instskip(SKIP_1) | instid1(VALU_DEP_1)
	v_lshlrev_b64 v[2:3], 2, v[2:3]
	s_waitcnt lgkmcnt(0)
	v_add_co_u32 v2, vcc_lo, s0, v2
	s_delay_alu instid0(VALU_DEP_2)
	v_add_co_ci_u32_e32 v3, vcc_lo, s1, v3, vcc_lo
	global_store_b32 v[2:3], v1, off
	s_nop 0
	s_sendmsg sendmsg(MSG_DEALLOC_VGPRS)
	s_endpgm
	.section	.rodata,"a",@progbits
	.p2align	6, 0x0
	.amdhsa_kernel _Z20warp_exchange_kernelILj256ELj1ELj16EN6common25BlockedToStripedShuffleOpEiEvPT3_j
		.amdhsa_group_segment_fixed_size 0
		.amdhsa_private_segment_fixed_size 0
		.amdhsa_kernarg_size 12
		.amdhsa_user_sgpr_count 15
		.amdhsa_user_sgpr_dispatch_ptr 0
		.amdhsa_user_sgpr_queue_ptr 0
		.amdhsa_user_sgpr_kernarg_segment_ptr 1
		.amdhsa_user_sgpr_dispatch_id 0
		.amdhsa_user_sgpr_private_segment_size 0
		.amdhsa_wavefront_size32 1
		.amdhsa_uses_dynamic_stack 0
		.amdhsa_enable_private_segment 0
		.amdhsa_system_sgpr_workgroup_id_x 1
		.amdhsa_system_sgpr_workgroup_id_y 0
		.amdhsa_system_sgpr_workgroup_id_z 0
		.amdhsa_system_sgpr_workgroup_info 0
		.amdhsa_system_vgpr_workitem_id 0
		.amdhsa_next_free_vgpr 4
		.amdhsa_next_free_sgpr 16
		.amdhsa_reserve_vcc 1
		.amdhsa_float_round_mode_32 0
		.amdhsa_float_round_mode_16_64 0
		.amdhsa_float_denorm_mode_32 3
		.amdhsa_float_denorm_mode_16_64 3
		.amdhsa_dx10_clamp 1
		.amdhsa_ieee_mode 1
		.amdhsa_fp16_overflow 0
		.amdhsa_workgroup_processor_mode 1
		.amdhsa_memory_ordered 1
		.amdhsa_forward_progress 0
		.amdhsa_shared_vgpr_count 0
		.amdhsa_exception_fp_ieee_invalid_op 0
		.amdhsa_exception_fp_denorm_src 0
		.amdhsa_exception_fp_ieee_div_zero 0
		.amdhsa_exception_fp_ieee_overflow 0
		.amdhsa_exception_fp_ieee_underflow 0
		.amdhsa_exception_fp_ieee_inexact 0
		.amdhsa_exception_int_div_zero 0
	.end_amdhsa_kernel
	.section	.text._Z20warp_exchange_kernelILj256ELj1ELj16EN6common25BlockedToStripedShuffleOpEiEvPT3_j,"axG",@progbits,_Z20warp_exchange_kernelILj256ELj1ELj16EN6common25BlockedToStripedShuffleOpEiEvPT3_j,comdat
.Lfunc_end14:
	.size	_Z20warp_exchange_kernelILj256ELj1ELj16EN6common25BlockedToStripedShuffleOpEiEvPT3_j, .Lfunc_end14-_Z20warp_exchange_kernelILj256ELj1ELj16EN6common25BlockedToStripedShuffleOpEiEvPT3_j
                                        ; -- End function
	.section	.AMDGPU.csdata,"",@progbits
; Kernel info:
; codeLenInByte = 148
; NumSgprs: 18
; NumVgprs: 4
; ScratchSize: 0
; MemoryBound: 0
; FloatMode: 240
; IeeeMode: 1
; LDSByteSize: 0 bytes/workgroup (compile time only)
; SGPRBlocks: 2
; VGPRBlocks: 0
; NumSGPRsForWavesPerEU: 18
; NumVGPRsForWavesPerEU: 4
; Occupancy: 16
; WaveLimiterHint : 0
; COMPUTE_PGM_RSRC2:SCRATCH_EN: 0
; COMPUTE_PGM_RSRC2:USER_SGPR: 15
; COMPUTE_PGM_RSRC2:TRAP_HANDLER: 0
; COMPUTE_PGM_RSRC2:TGID_X_EN: 1
; COMPUTE_PGM_RSRC2:TGID_Y_EN: 0
; COMPUTE_PGM_RSRC2:TGID_Z_EN: 0
; COMPUTE_PGM_RSRC2:TIDIG_COMP_CNT: 0
	.section	.text._Z20warp_exchange_kernelILj256ELj1ELj32EN6common25BlockedToStripedShuffleOpEiEvPT3_j,"axG",@progbits,_Z20warp_exchange_kernelILj256ELj1ELj32EN6common25BlockedToStripedShuffleOpEiEvPT3_j,comdat
	.protected	_Z20warp_exchange_kernelILj256ELj1ELj32EN6common25BlockedToStripedShuffleOpEiEvPT3_j ; -- Begin function _Z20warp_exchange_kernelILj256ELj1ELj32EN6common25BlockedToStripedShuffleOpEiEvPT3_j
	.globl	_Z20warp_exchange_kernelILj256ELj1ELj32EN6common25BlockedToStripedShuffleOpEiEvPT3_j
	.p2align	8
	.type	_Z20warp_exchange_kernelILj256ELj1ELj32EN6common25BlockedToStripedShuffleOpEiEvPT3_j,@function
_Z20warp_exchange_kernelILj256ELj1ELj32EN6common25BlockedToStripedShuffleOpEiEvPT3_j: ; @_Z20warp_exchange_kernelILj256ELj1ELj32EN6common25BlockedToStripedShuffleOpEiEvPT3_j
; %bb.0:
	s_load_b32 s2, s[0:1], 0x8
	s_waitcnt lgkmcnt(0)
	s_cmp_eq_u32 s2, 0
	s_cbranch_scc1 .LBB15_3
; %bb.1:
	v_mbcnt_lo_u32_b32 v1, -1, 0
	s_delay_alu instid0(VALU_DEP_1)
	v_dual_mov_b32 v1, v0 :: v_dual_lshlrev_b32 v2, 2, v1
.LBB15_2:                               ; =>This Inner Loop Header: Depth=1
	s_waitcnt lgkmcnt(0)
	ds_bpermute_b32 v1, v2, v1
	s_add_i32 s2, s2, -1
	s_delay_alu instid0(SALU_CYCLE_1)
	s_cmp_lg_u32 s2, 0
	; wave barrier
	s_cbranch_scc1 .LBB15_2
	s_branch .LBB15_4
.LBB15_3:
	v_mov_b32_e32 v1, v0
.LBB15_4:
	s_load_b64 s[0:1], s[0:1], 0x0
	v_lshl_or_b32 v2, s15, 8, v0
	v_mov_b32_e32 v3, 0
	s_delay_alu instid0(VALU_DEP_1) | instskip(SKIP_1) | instid1(VALU_DEP_1)
	v_lshlrev_b64 v[2:3], 2, v[2:3]
	s_waitcnt lgkmcnt(0)
	v_add_co_u32 v2, vcc_lo, s0, v2
	s_delay_alu instid0(VALU_DEP_2)
	v_add_co_ci_u32_e32 v3, vcc_lo, s1, v3, vcc_lo
	global_store_b32 v[2:3], v1, off
	s_nop 0
	s_sendmsg sendmsg(MSG_DEALLOC_VGPRS)
	s_endpgm
	.section	.rodata,"a",@progbits
	.p2align	6, 0x0
	.amdhsa_kernel _Z20warp_exchange_kernelILj256ELj1ELj32EN6common25BlockedToStripedShuffleOpEiEvPT3_j
		.amdhsa_group_segment_fixed_size 0
		.amdhsa_private_segment_fixed_size 0
		.amdhsa_kernarg_size 12
		.amdhsa_user_sgpr_count 15
		.amdhsa_user_sgpr_dispatch_ptr 0
		.amdhsa_user_sgpr_queue_ptr 0
		.amdhsa_user_sgpr_kernarg_segment_ptr 1
		.amdhsa_user_sgpr_dispatch_id 0
		.amdhsa_user_sgpr_private_segment_size 0
		.amdhsa_wavefront_size32 1
		.amdhsa_uses_dynamic_stack 0
		.amdhsa_enable_private_segment 0
		.amdhsa_system_sgpr_workgroup_id_x 1
		.amdhsa_system_sgpr_workgroup_id_y 0
		.amdhsa_system_sgpr_workgroup_id_z 0
		.amdhsa_system_sgpr_workgroup_info 0
		.amdhsa_system_vgpr_workitem_id 0
		.amdhsa_next_free_vgpr 4
		.amdhsa_next_free_sgpr 16
		.amdhsa_reserve_vcc 1
		.amdhsa_float_round_mode_32 0
		.amdhsa_float_round_mode_16_64 0
		.amdhsa_float_denorm_mode_32 3
		.amdhsa_float_denorm_mode_16_64 3
		.amdhsa_dx10_clamp 1
		.amdhsa_ieee_mode 1
		.amdhsa_fp16_overflow 0
		.amdhsa_workgroup_processor_mode 1
		.amdhsa_memory_ordered 1
		.amdhsa_forward_progress 0
		.amdhsa_shared_vgpr_count 0
		.amdhsa_exception_fp_ieee_invalid_op 0
		.amdhsa_exception_fp_denorm_src 0
		.amdhsa_exception_fp_ieee_div_zero 0
		.amdhsa_exception_fp_ieee_overflow 0
		.amdhsa_exception_fp_ieee_underflow 0
		.amdhsa_exception_fp_ieee_inexact 0
		.amdhsa_exception_int_div_zero 0
	.end_amdhsa_kernel
	.section	.text._Z20warp_exchange_kernelILj256ELj1ELj32EN6common25BlockedToStripedShuffleOpEiEvPT3_j,"axG",@progbits,_Z20warp_exchange_kernelILj256ELj1ELj32EN6common25BlockedToStripedShuffleOpEiEvPT3_j,comdat
.Lfunc_end15:
	.size	_Z20warp_exchange_kernelILj256ELj1ELj32EN6common25BlockedToStripedShuffleOpEiEvPT3_j, .Lfunc_end15-_Z20warp_exchange_kernelILj256ELj1ELj32EN6common25BlockedToStripedShuffleOpEiEvPT3_j
                                        ; -- End function
	.section	.AMDGPU.csdata,"",@progbits
; Kernel info:
; codeLenInByte = 148
; NumSgprs: 18
; NumVgprs: 4
; ScratchSize: 0
; MemoryBound: 0
; FloatMode: 240
; IeeeMode: 1
; LDSByteSize: 0 bytes/workgroup (compile time only)
; SGPRBlocks: 2
; VGPRBlocks: 0
; NumSGPRsForWavesPerEU: 18
; NumVGPRsForWavesPerEU: 4
; Occupancy: 16
; WaveLimiterHint : 0
; COMPUTE_PGM_RSRC2:SCRATCH_EN: 0
; COMPUTE_PGM_RSRC2:USER_SGPR: 15
; COMPUTE_PGM_RSRC2:TRAP_HANDLER: 0
; COMPUTE_PGM_RSRC2:TGID_X_EN: 1
; COMPUTE_PGM_RSRC2:TGID_Y_EN: 0
; COMPUTE_PGM_RSRC2:TGID_Z_EN: 0
; COMPUTE_PGM_RSRC2:TIDIG_COMP_CNT: 0
	.section	.text._Z20warp_exchange_kernelILj256ELj4ELj16EN6common25BlockedToStripedShuffleOpEiEvPT3_j,"axG",@progbits,_Z20warp_exchange_kernelILj256ELj4ELj16EN6common25BlockedToStripedShuffleOpEiEvPT3_j,comdat
	.protected	_Z20warp_exchange_kernelILj256ELj4ELj16EN6common25BlockedToStripedShuffleOpEiEvPT3_j ; -- Begin function _Z20warp_exchange_kernelILj256ELj4ELj16EN6common25BlockedToStripedShuffleOpEiEvPT3_j
	.globl	_Z20warp_exchange_kernelILj256ELj4ELj16EN6common25BlockedToStripedShuffleOpEiEvPT3_j
	.p2align	8
	.type	_Z20warp_exchange_kernelILj256ELj4ELj16EN6common25BlockedToStripedShuffleOpEiEvPT3_j,@function
_Z20warp_exchange_kernelILj256ELj4ELj16EN6common25BlockedToStripedShuffleOpEiEvPT3_j: ; @_Z20warp_exchange_kernelILj256ELj4ELj16EN6common25BlockedToStripedShuffleOpEiEvPT3_j
; %bb.0:
	s_load_b32 s26, s[0:1], 0x8
	v_lshlrev_b32_e32 v4, 2, v0
	s_delay_alu instid0(VALU_DEP_1)
	v_or_b32_e32 v1, 1, v4
	v_or_b32_e32 v2, 2, v4
	;; [unrolled: 1-line block ×3, first 2 shown]
	s_waitcnt lgkmcnt(0)
	s_cmp_eq_u32 s26, 0
	s_cbranch_scc1 .LBB16_3
; %bb.1:
	v_mbcnt_lo_u32_b32 v0, -1, 0
	s_delay_alu instid0(VALU_DEP_1)
	v_and_b32_e32 v8, 3, v0
	v_add_nc_u32_e32 v5, -1, v0
	v_and_b32_e32 v6, 16, v0
	v_add_nc_u32_e32 v7, 12, v0
	v_lshlrev_b32_e32 v9, 2, v0
	v_add_nc_u32_e32 v10, 4, v0
	v_bfe_u32 v11, v0, 2, 2
	v_lshrrev_b32_e32 v0, 2, v0
	v_xor_b32_e32 v13, 2, v8
	v_and_or_b32 v7, v7, 15, v6
	v_cmp_eq_u32_e64 s10, 1, v8
	v_xor_b32_e32 v14, 2, v11
	v_add_nc_u32_e32 v0, -1, v0
	v_cmp_eq_u32_e64 s4, 1, v13
	v_cmp_eq_u32_e64 s5, 2, v13
	;; [unrolled: 1-line block ×3, first 2 shown]
	v_add_nc_u32_e32 v15, -1, v14
	v_and_b32_e32 v0, 3, v0
	v_cmp_eq_u32_e64 s11, 2, v8
	v_cmp_eq_u32_e64 s12, 3, v8
	;; [unrolled: 1-line block ×7, first 2 shown]
	v_mov_b32_e32 v0, v4
	v_and_b32_e32 v12, 3, v5
	v_xor_b32_e32 v5, 32, v9
	v_and_or_b32 v9, v10, 15, v6
	v_add_nc_u32_e32 v10, -1, v13
	v_lshlrev_b32_e32 v6, 2, v7
	v_cmp_eq_u32_e32 vcc_lo, 1, v12
	v_cmp_eq_u32_e64 s2, 2, v12
	v_lshlrev_b32_e32 v7, 2, v9
	v_and_b32_e32 v9, 3, v10
	v_and_b32_e32 v10, 3, v15
	v_cmp_eq_u32_e64 s3, 3, v12
	v_cmp_eq_u32_e64 s16, 3, v11
	;; [unrolled: 1-line block ×11, first 2 shown]
.LBB16_2:                               ; =>This Inner Loop Header: Depth=1
	s_waitcnt lgkmcnt(2)
	v_mov_b32_dpp v1, v1 quad_perm:[3,0,1,2] row_mask:0xf bank_mask:0xf
	s_waitcnt lgkmcnt(1)
	v_mov_b32_dpp v2, v2 quad_perm:[2,3,0,1] row_mask:0xf bank_mask:0xf
	;; [unrolled: 2-line block ×3, first 2 shown]
	s_add_i32 s26, s26, -1
	v_cndmask_b32_e32 v8, v0, v1, vcc_lo
	v_cndmask_b32_e64 v9, v0, v1, s4
	v_cndmask_b32_e64 v10, v0, v1, s7
	;; [unrolled: 1-line block ×3, first 2 shown]
	s_cmp_lg_u32 s26, 0
	v_cndmask_b32_e64 v8, v8, v2, s2
	v_cndmask_b32_e64 v9, v9, v2, s5
	;; [unrolled: 1-line block ×4, first 2 shown]
	; wave barrier
	s_delay_alu instid0(VALU_DEP_4) | instskip(NEXT) | instid1(VALU_DEP_4)
	v_cndmask_b32_e64 v8, v8, v3, s3
	v_cndmask_b32_e64 v9, v9, v3, s6
	s_delay_alu instid0(VALU_DEP_4) | instskip(NEXT) | instid1(VALU_DEP_4)
	v_cndmask_b32_e64 v10, v10, v3, s9
	v_cndmask_b32_e64 v0, v0, v3, s12
	s_delay_alu instid0(VALU_DEP_4) | instskip(NEXT) | instid1(VALU_DEP_4)
	v_mov_b32_dpp v8, v8 quad_perm:[1,2,3,0] row_mask:0xf bank_mask:0xf
	v_mov_b32_dpp v9, v9 quad_perm:[2,3,0,1] row_mask:0xf bank_mask:0xf
	s_delay_alu instid0(VALU_DEP_4)
	v_mov_b32_dpp v1, v10 quad_perm:[3,0,1,2] row_mask:0xf bank_mask:0xf
	ds_bpermute_b32 v8, v6, v8
	ds_bpermute_b32 v9, v5, v9
	;; [unrolled: 1-line block ×3, first 2 shown]
	s_waitcnt lgkmcnt(2)
	v_cndmask_b32_e64 v1, v0, v8, s17
	v_cndmask_b32_e64 v2, v0, v8, s20
	v_cndmask_b32_e64 v3, v0, v8, s23
	v_cndmask_b32_e64 v0, v0, v8, s13
	s_waitcnt lgkmcnt(1)
	v_cndmask_b32_e64 v1, v1, v9, s18
	v_cndmask_b32_e64 v2, v2, v9, s21
	v_cndmask_b32_e64 v3, v3, v9, s24
	v_cndmask_b32_e64 v0, v0, v9, s14
	;; [unrolled: 5-line block ×3, first 2 shown]
	ds_bpermute_b32 v1, v7, v1
	ds_bpermute_b32 v2, v5, v2
	;; [unrolled: 1-line block ×3, first 2 shown]
	s_cbranch_scc1 .LBB16_2
	s_branch .LBB16_4
.LBB16_3:
	v_mov_b32_e32 v0, v4
.LBB16_4:
	s_load_b64 s[0:1], s[0:1], 0x0
	v_lshl_or_b32 v4, s15, 10, v4
	v_mov_b32_e32 v5, 0
	s_delay_alu instid0(VALU_DEP_1) | instskip(SKIP_1) | instid1(VALU_DEP_1)
	v_lshlrev_b64 v[4:5], 2, v[4:5]
	s_waitcnt lgkmcnt(0)
	v_add_co_u32 v4, vcc_lo, s0, v4
	s_delay_alu instid0(VALU_DEP_2)
	v_add_co_ci_u32_e32 v5, vcc_lo, s1, v5, vcc_lo
	global_store_b128 v[4:5], v[0:3], off
	s_nop 0
	s_sendmsg sendmsg(MSG_DEALLOC_VGPRS)
	s_endpgm
	.section	.rodata,"a",@progbits
	.p2align	6, 0x0
	.amdhsa_kernel _Z20warp_exchange_kernelILj256ELj4ELj16EN6common25BlockedToStripedShuffleOpEiEvPT3_j
		.amdhsa_group_segment_fixed_size 0
		.amdhsa_private_segment_fixed_size 0
		.amdhsa_kernarg_size 12
		.amdhsa_user_sgpr_count 15
		.amdhsa_user_sgpr_dispatch_ptr 0
		.amdhsa_user_sgpr_queue_ptr 0
		.amdhsa_user_sgpr_kernarg_segment_ptr 1
		.amdhsa_user_sgpr_dispatch_id 0
		.amdhsa_user_sgpr_private_segment_size 0
		.amdhsa_wavefront_size32 1
		.amdhsa_uses_dynamic_stack 0
		.amdhsa_enable_private_segment 0
		.amdhsa_system_sgpr_workgroup_id_x 1
		.amdhsa_system_sgpr_workgroup_id_y 0
		.amdhsa_system_sgpr_workgroup_id_z 0
		.amdhsa_system_sgpr_workgroup_info 0
		.amdhsa_system_vgpr_workitem_id 0
		.amdhsa_next_free_vgpr 16
		.amdhsa_next_free_sgpr 27
		.amdhsa_reserve_vcc 1
		.amdhsa_float_round_mode_32 0
		.amdhsa_float_round_mode_16_64 0
		.amdhsa_float_denorm_mode_32 3
		.amdhsa_float_denorm_mode_16_64 3
		.amdhsa_dx10_clamp 1
		.amdhsa_ieee_mode 1
		.amdhsa_fp16_overflow 0
		.amdhsa_workgroup_processor_mode 1
		.amdhsa_memory_ordered 1
		.amdhsa_forward_progress 0
		.amdhsa_shared_vgpr_count 0
		.amdhsa_exception_fp_ieee_invalid_op 0
		.amdhsa_exception_fp_denorm_src 0
		.amdhsa_exception_fp_ieee_div_zero 0
		.amdhsa_exception_fp_ieee_overflow 0
		.amdhsa_exception_fp_ieee_underflow 0
		.amdhsa_exception_fp_ieee_inexact 0
		.amdhsa_exception_int_div_zero 0
	.end_amdhsa_kernel
	.section	.text._Z20warp_exchange_kernelILj256ELj4ELj16EN6common25BlockedToStripedShuffleOpEiEvPT3_j,"axG",@progbits,_Z20warp_exchange_kernelILj256ELj4ELj16EN6common25BlockedToStripedShuffleOpEiEvPT3_j,comdat
.Lfunc_end16:
	.size	_Z20warp_exchange_kernelILj256ELj4ELj16EN6common25BlockedToStripedShuffleOpEiEvPT3_j, .Lfunc_end16-_Z20warp_exchange_kernelILj256ELj4ELj16EN6common25BlockedToStripedShuffleOpEiEvPT3_j
                                        ; -- End function
	.section	.AMDGPU.csdata,"",@progbits
; Kernel info:
; codeLenInByte = 760
; NumSgprs: 29
; NumVgprs: 16
; ScratchSize: 0
; MemoryBound: 0
; FloatMode: 240
; IeeeMode: 1
; LDSByteSize: 0 bytes/workgroup (compile time only)
; SGPRBlocks: 3
; VGPRBlocks: 1
; NumSGPRsForWavesPerEU: 29
; NumVGPRsForWavesPerEU: 16
; Occupancy: 16
; WaveLimiterHint : 0
; COMPUTE_PGM_RSRC2:SCRATCH_EN: 0
; COMPUTE_PGM_RSRC2:USER_SGPR: 15
; COMPUTE_PGM_RSRC2:TRAP_HANDLER: 0
; COMPUTE_PGM_RSRC2:TGID_X_EN: 1
; COMPUTE_PGM_RSRC2:TGID_Y_EN: 0
; COMPUTE_PGM_RSRC2:TGID_Z_EN: 0
; COMPUTE_PGM_RSRC2:TIDIG_COMP_CNT: 0
	.section	.text._Z20warp_exchange_kernelILj256ELj4ELj32EN6common25BlockedToStripedShuffleOpEiEvPT3_j,"axG",@progbits,_Z20warp_exchange_kernelILj256ELj4ELj32EN6common25BlockedToStripedShuffleOpEiEvPT3_j,comdat
	.protected	_Z20warp_exchange_kernelILj256ELj4ELj32EN6common25BlockedToStripedShuffleOpEiEvPT3_j ; -- Begin function _Z20warp_exchange_kernelILj256ELj4ELj32EN6common25BlockedToStripedShuffleOpEiEvPT3_j
	.globl	_Z20warp_exchange_kernelILj256ELj4ELj32EN6common25BlockedToStripedShuffleOpEiEvPT3_j
	.p2align	8
	.type	_Z20warp_exchange_kernelILj256ELj4ELj32EN6common25BlockedToStripedShuffleOpEiEvPT3_j,@function
_Z20warp_exchange_kernelILj256ELj4ELj32EN6common25BlockedToStripedShuffleOpEiEvPT3_j: ; @_Z20warp_exchange_kernelILj256ELj4ELj32EN6common25BlockedToStripedShuffleOpEiEvPT3_j
; %bb.0:
	s_load_b32 s4, s[0:1], 0x8
	v_lshlrev_b32_e32 v4, 2, v0
	s_delay_alu instid0(VALU_DEP_1)
	v_or_b32_e32 v1, 1, v4
	v_or_b32_e32 v2, 2, v4
	;; [unrolled: 1-line block ×3, first 2 shown]
	s_waitcnt lgkmcnt(0)
	s_cmp_eq_u32 s4, 0
	s_cbranch_scc1 .LBB17_3
; %bb.1:
	v_mbcnt_lo_u32_b32 v0, -1, 0
	s_delay_alu instid0(VALU_DEP_1) | instskip(SKIP_1) | instid1(VALU_DEP_2)
	v_and_b32_e32 v6, 3, v0
	v_dual_mov_b32 v0, v4 :: v_dual_and_b32 v5, 28, v0
	v_cmp_eq_u32_e32 vcc_lo, 3, v6
	v_cmp_eq_u32_e64 s2, 2, v6
	v_cmp_eq_u32_e64 s3, 1, v6
	s_delay_alu instid0(VALU_DEP_4)
	v_or_b32_e32 v6, 32, v5
	v_or_b32_e32 v7, 64, v5
	;; [unrolled: 1-line block ×3, first 2 shown]
.LBB17_2:                               ; =>This Inner Loop Header: Depth=1
	ds_bpermute_b32 v9, v5, v0
	ds_bpermute_b32 v10, v5, v1
	;; [unrolled: 1-line block ×16, first 2 shown]
	s_add_i32 s4, s4, -1
	s_delay_alu instid0(SALU_CYCLE_1)
	s_cmp_lg_u32 s4, 0
	; wave barrier
	s_waitcnt lgkmcnt(14)
	v_cndmask_b32_e64 v9, v9, v10, s3
	s_waitcnt lgkmcnt(12)
	v_cndmask_b32_e64 v10, v11, v12, s3
	;; [unrolled: 2-line block ×8, first 2 shown]
	s_waitcnt lgkmcnt(3)
	v_cndmask_b32_e32 v0, v1, v18, vcc_lo
	s_waitcnt lgkmcnt(1)
	v_dual_cndmask_b32 v1, v9, v19 :: v_dual_cndmask_b32 v2, v10, v20
	s_waitcnt lgkmcnt(0)
	v_cndmask_b32_e32 v3, v11, v3, vcc_lo
	s_cbranch_scc1 .LBB17_2
	s_branch .LBB17_4
.LBB17_3:
	v_mov_b32_e32 v0, v4
.LBB17_4:
	s_load_b64 s[0:1], s[0:1], 0x0
	v_lshl_or_b32 v4, s15, 10, v4
	v_mov_b32_e32 v5, 0
	s_delay_alu instid0(VALU_DEP_1) | instskip(SKIP_1) | instid1(VALU_DEP_1)
	v_lshlrev_b64 v[4:5], 2, v[4:5]
	s_waitcnt lgkmcnt(0)
	v_add_co_u32 v4, vcc_lo, s0, v4
	s_delay_alu instid0(VALU_DEP_2)
	v_add_co_ci_u32_e32 v5, vcc_lo, s1, v5, vcc_lo
	global_store_b128 v[4:5], v[0:3], off
	s_nop 0
	s_sendmsg sendmsg(MSG_DEALLOC_VGPRS)
	s_endpgm
	.section	.rodata,"a",@progbits
	.p2align	6, 0x0
	.amdhsa_kernel _Z20warp_exchange_kernelILj256ELj4ELj32EN6common25BlockedToStripedShuffleOpEiEvPT3_j
		.amdhsa_group_segment_fixed_size 0
		.amdhsa_private_segment_fixed_size 0
		.amdhsa_kernarg_size 12
		.amdhsa_user_sgpr_count 15
		.amdhsa_user_sgpr_dispatch_ptr 0
		.amdhsa_user_sgpr_queue_ptr 0
		.amdhsa_user_sgpr_kernarg_segment_ptr 1
		.amdhsa_user_sgpr_dispatch_id 0
		.amdhsa_user_sgpr_private_segment_size 0
		.amdhsa_wavefront_size32 1
		.amdhsa_uses_dynamic_stack 0
		.amdhsa_enable_private_segment 0
		.amdhsa_system_sgpr_workgroup_id_x 1
		.amdhsa_system_sgpr_workgroup_id_y 0
		.amdhsa_system_sgpr_workgroup_id_z 0
		.amdhsa_system_sgpr_workgroup_info 0
		.amdhsa_system_vgpr_workitem_id 0
		.amdhsa_next_free_vgpr 21
		.amdhsa_next_free_sgpr 16
		.amdhsa_reserve_vcc 1
		.amdhsa_float_round_mode_32 0
		.amdhsa_float_round_mode_16_64 0
		.amdhsa_float_denorm_mode_32 3
		.amdhsa_float_denorm_mode_16_64 3
		.amdhsa_dx10_clamp 1
		.amdhsa_ieee_mode 1
		.amdhsa_fp16_overflow 0
		.amdhsa_workgroup_processor_mode 1
		.amdhsa_memory_ordered 1
		.amdhsa_forward_progress 0
		.amdhsa_shared_vgpr_count 0
		.amdhsa_exception_fp_ieee_invalid_op 0
		.amdhsa_exception_fp_denorm_src 0
		.amdhsa_exception_fp_ieee_div_zero 0
		.amdhsa_exception_fp_ieee_overflow 0
		.amdhsa_exception_fp_ieee_underflow 0
		.amdhsa_exception_fp_ieee_inexact 0
		.amdhsa_exception_int_div_zero 0
	.end_amdhsa_kernel
	.section	.text._Z20warp_exchange_kernelILj256ELj4ELj32EN6common25BlockedToStripedShuffleOpEiEvPT3_j,"axG",@progbits,_Z20warp_exchange_kernelILj256ELj4ELj32EN6common25BlockedToStripedShuffleOpEiEvPT3_j,comdat
.Lfunc_end17:
	.size	_Z20warp_exchange_kernelILj256ELj4ELj32EN6common25BlockedToStripedShuffleOpEiEvPT3_j, .Lfunc_end17-_Z20warp_exchange_kernelILj256ELj4ELj32EN6common25BlockedToStripedShuffleOpEiEvPT3_j
                                        ; -- End function
	.section	.AMDGPU.csdata,"",@progbits
; Kernel info:
; codeLenInByte = 452
; NumSgprs: 18
; NumVgprs: 21
; ScratchSize: 0
; MemoryBound: 0
; FloatMode: 240
; IeeeMode: 1
; LDSByteSize: 0 bytes/workgroup (compile time only)
; SGPRBlocks: 2
; VGPRBlocks: 2
; NumSGPRsForWavesPerEU: 18
; NumVGPRsForWavesPerEU: 21
; Occupancy: 16
; WaveLimiterHint : 0
; COMPUTE_PGM_RSRC2:SCRATCH_EN: 0
; COMPUTE_PGM_RSRC2:USER_SGPR: 15
; COMPUTE_PGM_RSRC2:TRAP_HANDLER: 0
; COMPUTE_PGM_RSRC2:TGID_X_EN: 1
; COMPUTE_PGM_RSRC2:TGID_Y_EN: 0
; COMPUTE_PGM_RSRC2:TGID_Z_EN: 0
; COMPUTE_PGM_RSRC2:TIDIG_COMP_CNT: 0
	.section	.text._Z20warp_exchange_kernelILj256ELj16ELj16EN6common25BlockedToStripedShuffleOpEiEvPT3_j,"axG",@progbits,_Z20warp_exchange_kernelILj256ELj16ELj16EN6common25BlockedToStripedShuffleOpEiEvPT3_j,comdat
	.protected	_Z20warp_exchange_kernelILj256ELj16ELj16EN6common25BlockedToStripedShuffleOpEiEvPT3_j ; -- Begin function _Z20warp_exchange_kernelILj256ELj16ELj16EN6common25BlockedToStripedShuffleOpEiEvPT3_j
	.globl	_Z20warp_exchange_kernelILj256ELj16ELj16EN6common25BlockedToStripedShuffleOpEiEvPT3_j
	.p2align	8
	.type	_Z20warp_exchange_kernelILj256ELj16ELj16EN6common25BlockedToStripedShuffleOpEiEvPT3_j,@function
_Z20warp_exchange_kernelILj256ELj16ELj16EN6common25BlockedToStripedShuffleOpEiEvPT3_j: ; @_Z20warp_exchange_kernelILj256ELj16ELj16EN6common25BlockedToStripedShuffleOpEiEvPT3_j
; %bb.0:
	s_load_b32 s4, s[2:3], 0x8
	v_and_b32_e32 v9, 0x3ff, v0
	s_delay_alu instid0(VALU_DEP_1) | instskip(NEXT) | instid1(VALU_DEP_1)
	v_lshlrev_b32_e32 v17, 4, v9
	v_or_b32_e32 v10, 1, v17
	v_or_b32_e32 v11, 2, v17
	;; [unrolled: 1-line block ×15, first 2 shown]
	s_waitcnt lgkmcnt(0)
	s_cmp_eq_u32 s4, 0
	s_cbranch_scc1 .LBB18_3
; %bb.1:
	s_load_b64 s[6:7], s[0:1], 0x4
	v_mbcnt_lo_u32_b32 v18, -1, 0
	v_bfe_u32 v19, v0, 10, 10
	v_bfe_u32 v0, v0, 20, 10
	s_delay_alu instid0(VALU_DEP_3) | instskip(SKIP_3) | instid1(VALU_DEP_4)
	v_and_b32_e32 v20, 8, v18
	v_and_b32_e32 v21, 4, v18
	;; [unrolled: 1-line block ×4, first 2 shown]
	v_lshlrev_b32_e32 v23, 2, v20
	v_cmp_eq_u32_e32 vcc_lo, 0, v20
	v_lshlrev_b32_e32 v24, 2, v21
	v_cmp_eq_u32_e64 s0, 0, v21
	v_lshlrev_b32_e32 v21, 2, v22
	v_cmp_eq_u32_e64 s1, 0, v22
	v_cndmask_b32_e64 v20, 4, 36, vcc_lo
	v_xor_b32_e32 v22, 32, v23
	v_cndmask_b32_e64 v23, 8, 40, vcc_lo
	s_waitcnt lgkmcnt(0)
	s_lshr_b32 s5, s6, 16
	v_cndmask_b32_e64 v25, 12, 44, vcc_lo
	s_mul_i32 s5, s5, s7
	v_cndmask_b32_e64 v26, 16, 48, vcc_lo
	v_mul_lo_u32 v9, s5, v9
	v_cndmask_b32_e64 v28, 20, 52, vcc_lo
	v_cndmask_b32_e64 v29, 24, 56, vcc_lo
	;; [unrolled: 1-line block ×3, first 2 shown]
	v_cmp_eq_u32_e32 vcc_lo, 0, v18
	v_cndmask_b32_e64 v27, 4, 20, s0
	v_cndmask_b32_e64 v35, 4, 12, s1
	v_xor_b32_e32 v31, 16, v24
	v_mad_u32_u24 v9, v19, s7, v9
	v_lshlrev_b32_e32 v19, 2, v18
	v_cndmask_b32_e64 v32, 8, 24, s0
	v_cndmask_b32_e64 v33, 12, 28, s0
	;; [unrolled: 1-line block ×6, first 2 shown]
	v_xor_b32_e32 v39, 8, v21
	v_cndmask_b32_e64 v40, 16, 24, s1
	v_add_lshl_u32 v0, v9, v0, 6
	v_cndmask_b32_e64 v9, 20, 28, s1
	v_cndmask_b32_e64 v41, 32, 40, s1
	;; [unrolled: 1-line block ×5, first 2 shown]
	v_xor_b32_e32 v45, 4, v19
	v_cndmask_b32_e64 v46, 8, 12, vcc_lo
	v_cndmask_b32_e64 v47, 16, 20, vcc_lo
	;; [unrolled: 1-line block ×7, first 2 shown]
	v_add_nc_u32_e32 v18, v0, v22
	v_add_nc_u32_e32 v19, v0, v20
	;; [unrolled: 1-line block ×20, first 2 shown]
	v_dual_mov_b32 v9, v17 :: v_dual_add_nc_u32 v38, v0, v41
	v_add_nc_u32_e32 v39, v0, v42
	v_add_nc_u32_e32 v40, v0, v43
	;; [unrolled: 1-line block ×11, first 2 shown]
.LBB18_2:                               ; =>This Inner Loop Header: Depth=1
	ds_store_b128 v0, v[9:12]
	s_waitcnt lgkmcnt(4)
	ds_store_b128 v0, v[13:16] offset:16
	ds_store_b128 v0, v[5:8] offset:32
	ds_load_b32 v5, v18
	s_add_i32 s4, s4, -1
	s_delay_alu instid0(SALU_CYCLE_1)
	s_cmp_lg_u32 s4, 0
	s_waitcnt lgkmcnt(0)
	ds_swizzle_b32 v5, v5 offset:swizzle(SWAP,8)
	s_waitcnt lgkmcnt(0)
	ds_store_b32 v18, v5
	ds_load_b32 v5, v19
	s_waitcnt lgkmcnt(0)
	ds_swizzle_b32 v5, v5 offset:swizzle(SWAP,8)
	s_waitcnt lgkmcnt(0)
	ds_store_b32 v19, v5
	ds_load_b32 v5, v20
	;; [unrolled: 5-line block ×3, first 2 shown]
	s_waitcnt lgkmcnt(0)
	ds_swizzle_b32 v5, v5 offset:swizzle(SWAP,8)
	ds_store_b128 v0, v[1:4] offset:48
	s_waitcnt lgkmcnt(1)
	ds_store_b32 v21, v5
	ds_load_b32 v1, v22
	s_waitcnt lgkmcnt(0)
	ds_swizzle_b32 v1, v1 offset:swizzle(SWAP,8)
	s_waitcnt lgkmcnt(0)
	ds_store_b32 v22, v1
	ds_load_b32 v1, v23
	ds_load_b32 v2, v26
	s_waitcnt lgkmcnt(1)
	ds_swizzle_b32 v1, v1 offset:swizzle(SWAP,8)
	s_waitcnt lgkmcnt(1)
	ds_swizzle_b32 v2, v2 offset:swizzle(SWAP,4)
	s_waitcnt lgkmcnt(1)
	ds_store_b32 v23, v1
	s_waitcnt lgkmcnt(1)
	ds_store_b32 v26, v2
	ds_load_b32 v1, v24
	ds_load_b32 v2, v27
	s_waitcnt lgkmcnt(1)
	ds_swizzle_b32 v1, v1 offset:swizzle(SWAP,8)
	s_waitcnt lgkmcnt(1)
	ds_swizzle_b32 v2, v2 offset:swizzle(SWAP,4)
	s_waitcnt lgkmcnt(1)
	ds_store_b32 v24, v1
	s_waitcnt lgkmcnt(1)
	ds_store_b32 v27, v2
	ds_load_b32 v1, v25
	ds_load_b32 v2, v28
	s_waitcnt lgkmcnt(1)
	ds_swizzle_b32 v1, v1 offset:swizzle(SWAP,8)
	s_waitcnt lgkmcnt(1)
	ds_swizzle_b32 v2, v2 offset:swizzle(SWAP,4)
	s_waitcnt lgkmcnt(1)
	ds_store_b32 v25, v1
	s_waitcnt lgkmcnt(1)
	ds_store_b32 v28, v2
	ds_load_b32 v1, v29
	ds_load_b32 v2, v30
	;; [unrolled: 1-line block ×3, first 2 shown]
	s_waitcnt lgkmcnt(2)
	ds_swizzle_b32 v1, v1 offset:swizzle(SWAP,4)
	s_waitcnt lgkmcnt(2)
	ds_swizzle_b32 v2, v2 offset:swizzle(SWAP,4)
	;; [unrolled: 2-line block ×3, first 2 shown]
	s_waitcnt lgkmcnt(2)
	ds_store_b32 v29, v1
	s_waitcnt lgkmcnt(2)
	ds_store_b32 v30, v2
	ds_load_b32 v1, v31
	s_waitcnt lgkmcnt(3)
	ds_store_b32 v34, v3
	ds_load_b32 v2, v35
	s_waitcnt lgkmcnt(2)
	ds_swizzle_b32 v1, v1 offset:swizzle(SWAP,4)
	s_waitcnt lgkmcnt(1)
	ds_swizzle_b32 v2, v2 offset:swizzle(SWAP,2)
	s_waitcnt lgkmcnt(1)
	ds_store_b32 v31, v1
	ds_load_b32 v1, v32
	ds_load_b32 v3, v36
	s_waitcnt lgkmcnt(3)
	ds_store_b32 v35, v2
	ds_load_b32 v2, v42
	s_waitcnt lgkmcnt(3)
	ds_swizzle_b32 v1, v1 offset:swizzle(SWAP,4)
	s_waitcnt lgkmcnt(3)
	ds_swizzle_b32 v3, v3 offset:swizzle(SWAP,2)
	s_waitcnt lgkmcnt(1)
	ds_store_b32 v32, v1
	s_waitcnt lgkmcnt(1)
	ds_store_b32 v36, v3
	ds_load_b32 v1, v33
	ds_load_b32 v3, v37
	ds_load_b32 v4, v38
	ds_load_b32 v5, v43
	ds_swizzle_b32 v2, v2 offset:swizzle(SWAP,1)
	s_waitcnt lgkmcnt(4)
	ds_swizzle_b32 v1, v1 offset:swizzle(SWAP,4)
	s_waitcnt lgkmcnt(4)
	;; [unrolled: 2-line block ×5, first 2 shown]
	ds_store_b32 v33, v1
	s_waitcnt lgkmcnt(3)
	ds_store_b32 v37, v3
	s_waitcnt lgkmcnt(3)
	ds_store_b32 v38, v4
	ds_load_b32 v1, v39
	ds_load_b32 v3, v40
	;; [unrolled: 1-line block ×3, first 2 shown]
	s_waitcnt lgkmcnt(2)
	ds_swizzle_b32 v1, v1 offset:swizzle(SWAP,2)
	s_waitcnt lgkmcnt(2)
	ds_swizzle_b32 v3, v3 offset:swizzle(SWAP,2)
	;; [unrolled: 2-line block ×3, first 2 shown]
	s_waitcnt lgkmcnt(2)
	ds_store_b32 v39, v1
	s_waitcnt lgkmcnt(2)
	ds_store_b32 v40, v3
	ds_load_b32 v1, v41
	ds_load_b32 v3, v45
	;; [unrolled: 1-line block ×4, first 2 shown]
	s_waitcnt lgkmcnt(3)
	ds_swizzle_b32 v1, v1 offset:swizzle(SWAP,2)
	s_waitcnt lgkmcnt(3)
	ds_swizzle_b32 v3, v3 offset:swizzle(SWAP,1)
	;; [unrolled: 2-line block ×4, first 2 shown]
	s_waitcnt lgkmcnt(3)
	ds_store_b32 v41, v1
	ds_load_b32 v1, v48
	ds_load_b32 v8, v49
	ds_store_b32 v43, v5
	ds_store_b32 v42, v2
	ds_load_b128 v[9:12], v0
	s_waitcnt lgkmcnt(7)
	ds_store_b32 v46, v6
	s_waitcnt lgkmcnt(7)
	ds_store_b32 v47, v7
	s_waitcnt lgkmcnt(6)
	ds_swizzle_b32 v1, v1 offset:swizzle(SWAP,1)
	s_waitcnt lgkmcnt(6)
	ds_swizzle_b32 v50, v8 offset:swizzle(SWAP,1)
	ds_load_b128 v[5:8], v0 offset:32
	ds_store_b32 v44, v4
	ds_store_b32 v45, v3
	ds_load_b128 v[13:16], v0 offset:16
	s_waitcnt lgkmcnt(5)
	ds_store_b32 v48, v1
	s_waitcnt lgkmcnt(5)
	ds_store_b32 v49, v50
	ds_load_b128 v[1:4], v0 offset:48
	; wave barrier
	s_cbranch_scc1 .LBB18_2
	s_branch .LBB18_4
.LBB18_3:
	v_mov_b32_e32 v9, v17
.LBB18_4:
	s_load_b64 s[0:1], s[2:3], 0x0
	v_lshl_or_b32 v17, s15, 12, v17
	v_mov_b32_e32 v18, 0
	s_delay_alu instid0(VALU_DEP_1) | instskip(SKIP_1) | instid1(VALU_DEP_1)
	v_lshlrev_b64 v[17:18], 2, v[17:18]
	s_waitcnt lgkmcnt(0)
	v_add_co_u32 v17, vcc_lo, s0, v17
	s_delay_alu instid0(VALU_DEP_2)
	v_add_co_ci_u32_e32 v18, vcc_lo, s1, v18, vcc_lo
	s_clause 0x3
	global_store_b128 v[17:18], v[9:12], off
	global_store_b128 v[17:18], v[13:16], off offset:16
	global_store_b128 v[17:18], v[5:8], off offset:32
	;; [unrolled: 1-line block ×3, first 2 shown]
	s_nop 0
	s_sendmsg sendmsg(MSG_DEALLOC_VGPRS)
	s_endpgm
	.section	.rodata,"a",@progbits
	.p2align	6, 0x0
	.amdhsa_kernel _Z20warp_exchange_kernelILj256ELj16ELj16EN6common25BlockedToStripedShuffleOpEiEvPT3_j
		.amdhsa_group_segment_fixed_size 16384
		.amdhsa_private_segment_fixed_size 0
		.amdhsa_kernarg_size 12
		.amdhsa_user_sgpr_count 15
		.amdhsa_user_sgpr_dispatch_ptr 1
		.amdhsa_user_sgpr_queue_ptr 0
		.amdhsa_user_sgpr_kernarg_segment_ptr 1
		.amdhsa_user_sgpr_dispatch_id 0
		.amdhsa_user_sgpr_private_segment_size 0
		.amdhsa_wavefront_size32 1
		.amdhsa_uses_dynamic_stack 0
		.amdhsa_enable_private_segment 0
		.amdhsa_system_sgpr_workgroup_id_x 1
		.amdhsa_system_sgpr_workgroup_id_y 0
		.amdhsa_system_sgpr_workgroup_id_z 0
		.amdhsa_system_sgpr_workgroup_info 0
		.amdhsa_system_vgpr_workitem_id 2
		.amdhsa_next_free_vgpr 53
		.amdhsa_next_free_sgpr 16
		.amdhsa_reserve_vcc 1
		.amdhsa_float_round_mode_32 0
		.amdhsa_float_round_mode_16_64 0
		.amdhsa_float_denorm_mode_32 3
		.amdhsa_float_denorm_mode_16_64 3
		.amdhsa_dx10_clamp 1
		.amdhsa_ieee_mode 1
		.amdhsa_fp16_overflow 0
		.amdhsa_workgroup_processor_mode 1
		.amdhsa_memory_ordered 1
		.amdhsa_forward_progress 0
		.amdhsa_shared_vgpr_count 0
		.amdhsa_exception_fp_ieee_invalid_op 0
		.amdhsa_exception_fp_denorm_src 0
		.amdhsa_exception_fp_ieee_div_zero 0
		.amdhsa_exception_fp_ieee_overflow 0
		.amdhsa_exception_fp_ieee_underflow 0
		.amdhsa_exception_fp_ieee_inexact 0
		.amdhsa_exception_int_div_zero 0
	.end_amdhsa_kernel
	.section	.text._Z20warp_exchange_kernelILj256ELj16ELj16EN6common25BlockedToStripedShuffleOpEiEvPT3_j,"axG",@progbits,_Z20warp_exchange_kernelILj256ELj16ELj16EN6common25BlockedToStripedShuffleOpEiEvPT3_j,comdat
.Lfunc_end18:
	.size	_Z20warp_exchange_kernelILj256ELj16ELj16EN6common25BlockedToStripedShuffleOpEiEvPT3_j, .Lfunc_end18-_Z20warp_exchange_kernelILj256ELj16ELj16EN6common25BlockedToStripedShuffleOpEiEvPT3_j
                                        ; -- End function
	.section	.AMDGPU.csdata,"",@progbits
; Kernel info:
; codeLenInByte = 1792
; NumSgprs: 18
; NumVgprs: 53
; ScratchSize: 0
; MemoryBound: 0
; FloatMode: 240
; IeeeMode: 1
; LDSByteSize: 16384 bytes/workgroup (compile time only)
; SGPRBlocks: 2
; VGPRBlocks: 6
; NumSGPRsForWavesPerEU: 18
; NumVGPRsForWavesPerEU: 53
; Occupancy: 16
; WaveLimiterHint : 0
; COMPUTE_PGM_RSRC2:SCRATCH_EN: 0
; COMPUTE_PGM_RSRC2:USER_SGPR: 15
; COMPUTE_PGM_RSRC2:TRAP_HANDLER: 0
; COMPUTE_PGM_RSRC2:TGID_X_EN: 1
; COMPUTE_PGM_RSRC2:TGID_Y_EN: 0
; COMPUTE_PGM_RSRC2:TGID_Z_EN: 0
; COMPUTE_PGM_RSRC2:TIDIG_COMP_CNT: 2
	.section	.text._Z20warp_exchange_kernelILj256ELj16ELj32EN6common25BlockedToStripedShuffleOpEiEvPT3_j,"axG",@progbits,_Z20warp_exchange_kernelILj256ELj16ELj32EN6common25BlockedToStripedShuffleOpEiEvPT3_j,comdat
	.protected	_Z20warp_exchange_kernelILj256ELj16ELj32EN6common25BlockedToStripedShuffleOpEiEvPT3_j ; -- Begin function _Z20warp_exchange_kernelILj256ELj16ELj32EN6common25BlockedToStripedShuffleOpEiEvPT3_j
	.globl	_Z20warp_exchange_kernelILj256ELj16ELj32EN6common25BlockedToStripedShuffleOpEiEvPT3_j
	.p2align	8
	.type	_Z20warp_exchange_kernelILj256ELj16ELj32EN6common25BlockedToStripedShuffleOpEiEvPT3_j,@function
_Z20warp_exchange_kernelILj256ELj16ELj32EN6common25BlockedToStripedShuffleOpEiEvPT3_j: ; @_Z20warp_exchange_kernelILj256ELj16ELj32EN6common25BlockedToStripedShuffleOpEiEvPT3_j
; %bb.0:
                                        ; implicit-def: $vgpr65 : SGPR spill to VGPR lane
	v_lshlrev_b32_e32 v16, 4, v0
	v_writelane_b32 v65, s0, 0
	s_delay_alu instid0(VALU_DEP_2)
	v_or_b32_e32 v1, 1, v16
	v_writelane_b32 v65, s1, 1
	s_load_b32 s1, s[0:1], 0x8
	v_or_b32_e32 v2, 2, v16
	v_or_b32_e32 v3, 3, v16
	;; [unrolled: 1-line block ×14, first 2 shown]
	s_waitcnt lgkmcnt(0)
	s_cmp_eq_u32 s1, 0
	s_cbranch_scc1 .LBB19_4
; %bb.1:
	v_mbcnt_lo_u32_b32 v0, -1, 0
	v_writelane_b32 v65, s15, 2
	s_delay_alu instid0(VALU_DEP_2)
	v_add_nc_u32_e32 v19, 28, v0
	v_and_b32_e32 v18, 3, v0
	v_add_nc_u32_e32 v17, -1, v0
	v_add_nc_u32_e32 v21, 20, v0
	v_add_nc_u32_e32 v20, 24, v0
	v_and_b32_e32 v26, 31, v19
	v_or_b32_e32 v22, 4, v18
	v_and_b32_e32 v25, 3, v17
	v_xor_b32_e32 v17, 2, v18
	v_and_b32_e32 v28, 31, v21
	v_lshlrev_b32_e32 v21, 2, v26
	v_add_nc_u32_e32 v26, 12, v0
	v_or_b32_e32 v23, 8, v18
	v_or_b32_e32 v24, 12, v18
	;; [unrolled: 1-line block ×3, first 2 shown]
	v_add_nc_u32_e32 v30, 3, v17
	v_cmp_eq_u32_e64 s0, 1, v18
	v_cmp_eq_u32_e64 s2, 2, v18
	;; [unrolled: 1-line block ×15, first 2 shown]
	v_or_b32_e32 v18, 8, v25
	v_or_b32_e32 v19, 12, v25
	v_cmp_eq_u32_e64 s63, 1, v25
	v_cmp_eq_u32_e64 s64, 2, v25
	;; [unrolled: 1-line block ×15, first 2 shown]
	v_lshlrev_b32_e32 v25, 2, v28
	v_and_b32_e32 v28, 31, v26
	v_add_nc_u32_e32 v26, 4, v0
	v_and_b32_e32 v27, 31, v20
	v_cmp_eq_u32_e64 s17, 1, v22
	v_cmp_eq_u32_e64 s18, 2, v22
	v_cmp_eq_u32_e64 s19, 3, v22
	v_cmp_eq_u32_e64 s20, 4, v22
	v_cmp_eq_u32_e64 s21, 5, v22
	v_cmp_eq_u32_e64 s22, 6, v22
	v_cmp_eq_u32_e64 s23, 7, v22
	v_cmp_eq_u32_e64 s24, 8, v22
	v_cmp_eq_u32_e64 s25, 9, v22
	v_cmp_eq_u32_e64 s26, 10, v22
	v_cmp_eq_u32_e64 s27, 11, v22
	v_cmp_eq_u32_e64 s28, 12, v22
	v_cmp_eq_u32_e64 s29, 13, v22
	v_cmp_eq_u32_e64 s30, 14, v22
	v_cmp_eq_u32_e64 s31, 15, v22
	v_cmp_eq_u32_e64 s33, 1, v23
	v_cmp_eq_u32_e64 s34, 2, v23
	v_cmp_eq_u32_e64 s35, 3, v23
	v_cmp_eq_u32_e64 s36, 4, v23
	v_cmp_eq_u32_e64 s37, 5, v23
	v_cmp_eq_u32_e64 s38, 6, v23
	v_cmp_eq_u32_e64 s39, 7, v23
	v_cmp_eq_u32_e64 s40, 8, v23
	v_cmp_eq_u32_e64 s41, 9, v23
	v_cmp_eq_u32_e64 s42, 10, v23
	v_cmp_eq_u32_e64 s43, 11, v23
	v_cmp_eq_u32_e64 s44, 12, v23
	v_cmp_eq_u32_e64 s45, 13, v23
	v_cmp_eq_u32_e64 s46, 14, v23
	v_cmp_eq_u32_e64 s47, 15, v23
	v_and_b32_e32 v20, 3, v30
	v_or_b32_e32 v22, 4, v30
	v_or_b32_e32 v23, 12, v30
	v_and_b32_e32 v30, 31, v26
	v_lshrrev_b32_e32 v26, 2, v0
	v_cmp_eq_u32_e64 s48, 1, v24
	v_cmp_eq_u32_e64 s49, 2, v24
	;; [unrolled: 1-line block ×30, first 2 shown]
	v_add_nc_u32_e32 v29, 8, v0
	v_lshlrev_b32_e32 v24, 2, v27
	v_lshlrev_b32_e32 v27, 2, v0
	v_add_nc_u32_e32 v0, -1, v26
	v_xor_b32_e32 v34, 4, v26
	v_and_b32_e32 v29, 31, v29
	v_lshlrev_b32_e32 v28, 2, v28
	v_xor_b32_e32 v27, 64, v27
	v_and_b32_e32 v31, 7, v0
	v_add_nc_u32_e32 v0, 6, v26
	v_lshlrev_b32_e32 v29, 2, v29
	v_lshlrev_b32_e32 v30, 2, v30
	v_cmp_eq_u32_e64 s93, 1, v18
	v_cmp_eq_u32_e64 s94, 2, v18
	v_and_b32_e32 v32, 7, v0
	v_add_nc_u32_e32 v0, 5, v26
	v_cmp_eq_u32_e64 s95, 1, v26
	v_or_b32_e32 v41, 4, v17
	v_or_b32_e32 v42, 8, v17
	;; [unrolled: 1-line block ×3, first 2 shown]
	v_and_b32_e32 v33, 7, v0
	v_add_nc_u32_e32 v0, 7, v34
	v_or_b32_e32 v44, 8, v20
	v_or_b32_e32 v45, 8, v26
	;; [unrolled: 1-line block ×4, first 2 shown]
	v_and_b32_e32 v35, 7, v0
	v_or_b32_e32 v36, 8, v0
	v_add_nc_u32_e32 v0, 6, v34
	v_or_b32_e32 v48, 8, v33
	v_or_b32_e32 v49, 8, v34
	v_cmp_eq_u32_e64 s96, 2, v26
	v_cmp_eq_u32_e64 s97, 3, v26
	v_and_b32_e32 v37, 7, v0
	v_or_b32_e32 v38, 8, v0
	v_add_nc_u32_e32 v0, 5, v34
	v_cmp_eq_u32_e64 s98, 4, v26
	v_cmp_eq_u32_e64 s99, 5, v26
	;; [unrolled: 1-line block ×4, first 2 shown]
	v_and_b32_e32 v39, 7, v0
	v_or_b32_e32 v40, 8, v0
	v_mov_b32_e32 v0, v16
	v_cmp_eq_u32_e64 s102, 8, v26
	v_cmp_eq_u32_e64 s103, 9, v26
	;; [unrolled: 1-line block ×3, first 2 shown]
	v_cmp_eq_u32_e64 vcc_hi, 11, v26
	v_cmp_eq_u32_e64 s15, 12, v26
.LBB19_2:                               ; =>This Inner Loop Header: Depth=1
	v_mov_b32_dpp v1, v1 quad_perm:[3,0,1,2] row_mask:0xf bank_mask:0xf
	v_cmp_eq_u32_e32 vcc_lo, 1, v19
	s_waitcnt lgkmcnt(3)
	v_mov_b32_dpp v51, v2 quad_perm:[2,3,0,1] row_mask:0xf bank_mask:0xf
	v_mov_b32_dpp v13, v13 quad_perm:[3,0,1,2] row_mask:0xf bank_mask:0xf
	s_waitcnt lgkmcnt(2)
	v_mov_b32_dpp v52, v3 quad_perm:[1,2,3,0] row_mask:0xf bank_mask:0xf
	v_mov_b32_dpp v14, v14 quad_perm:[2,3,0,1] row_mask:0xf bank_mask:0xf
	v_cndmask_b32_e32 v50, v0, v1, vcc_lo
	v_cmp_eq_u32_e32 vcc_lo, 2, v19
	v_mov_b32_dpp v15, v15 quad_perm:[1,2,3,0] row_mask:0xf bank_mask:0xf
	v_mov_b32_dpp v9, v9 quad_perm:[3,0,1,2] row_mask:0xf bank_mask:0xf
	;; [unrolled: 1-line block ×4, first 2 shown]
	v_cndmask_b32_e32 v2, v50, v51, vcc_lo
	v_cndmask_b32_e64 v50, v0, v1, s93
	v_cmp_eq_u32_e32 vcc_lo, 3, v18
	v_cndmask_b32_e64 v61, v0, v1, s17
	v_cndmask_b32_e64 v62, v0, v1, s33
	;; [unrolled: 1-line block ×5, first 2 shown]
	s_add_i32 s1, s1, -1
	s_delay_alu instid0(SALU_CYCLE_1) | instskip(NEXT) | instid1(VALU_DEP_2)
	s_cmp_lg_u32 s1, 0
	v_cndmask_b32_e32 v3, v50, v52, vcc_lo
	v_cmp_eq_u32_e32 vcc_lo, 3, v19
	; wave barrier
	v_cndmask_b32_e32 v2, v2, v52, vcc_lo
	v_cmp_eq_u32_e32 vcc_lo, 1, v17
	v_cndmask_b32_e32 v50, v0, v1, vcc_lo
	v_cmp_eq_u32_e32 vcc_lo, 2, v17
	s_delay_alu instid0(VALU_DEP_2)
	v_cndmask_b32_e32 v50, v50, v51, vcc_lo
	v_cmp_eq_u32_e32 vcc_lo, 4, v18
	v_cndmask_b32_e32 v3, v3, v12, vcc_lo
	v_cmp_eq_u32_e32 vcc_lo, 4, v19
	;; [unrolled: 2-line block ×5, first 2 shown]
	s_delay_alu instid0(VALU_DEP_4) | instskip(SKIP_1) | instid1(VALU_DEP_4)
	v_cndmask_b32_e32 v50, v50, v12, vcc_lo
	v_cmp_eq_u32_e32 vcc_lo, 6, v18
	v_cndmask_b32_e32 v3, v3, v14, vcc_lo
	v_cmp_eq_u32_e32 vcc_lo, 5, v19
	v_cndmask_b32_e32 v2, v2, v13, vcc_lo
	v_cmp_eq_u32_e32 vcc_lo, 7, v18
	s_delay_alu instid0(VALU_DEP_4) | instskip(SKIP_3) | instid1(VALU_DEP_4)
	v_cndmask_b32_e32 v3, v3, v15, vcc_lo
	v_cmp_eq_u32_e32 vcc_lo, 5, v17
	v_cndmask_b32_e32 v50, v50, v13, vcc_lo
	v_cmp_eq_u32_e32 vcc_lo, 8, v18
	;; [unrolled: 2-line block ×3, first 2 shown]
	s_delay_alu instid0(VALU_DEP_2) | instskip(SKIP_3) | instid1(VALU_DEP_2)
	v_cndmask_b32_e32 v3, v3, v9, vcc_lo
	v_cmp_eq_u32_e32 vcc_lo, 1, v41
	v_cndmask_b32_e32 v53, v0, v1, vcc_lo
	v_cmp_eq_u32_e32 vcc_lo, 2, v41
	;; [unrolled: 2-line block ×4, first 2 shown]
	s_delay_alu instid0(VALU_DEP_4) | instskip(SKIP_1) | instid1(VALU_DEP_4)
	v_cndmask_b32_e32 v53, v53, v52, vcc_lo
	v_cmp_eq_u32_e32 vcc_lo, 11, v18
	v_cndmask_b32_e32 v3, v3, v11, vcc_lo
	v_cmp_eq_u32_e32 vcc_lo, 6, v19
	;; [unrolled: 2-line block ×4, first 2 shown]
	s_waitcnt lgkmcnt(1)
	v_cndmask_b32_e32 v2, v3, v4, vcc_lo
	v_cmp_eq_u32_e32 vcc_lo, 4, v41
	v_cndmask_b32_e32 v3, v53, v12, vcc_lo
	v_mov_b32_dpp v53, v5 quad_perm:[3,0,1,2] row_mask:0xf bank_mask:0xf
	v_cmp_eq_u32_e32 vcc_lo, 13, v18
	v_mov_b32_dpp v5, v6 quad_perm:[2,3,0,1] row_mask:0xf bank_mask:0xf
	s_delay_alu instid0(VALU_DEP_3) | instskip(SKIP_3) | instid1(VALU_DEP_4)
	v_cndmask_b32_e32 v2, v2, v53, vcc_lo
	v_cmp_eq_u32_e32 vcc_lo, 5, v41
	v_cndmask_b32_e32 v3, v3, v13, vcc_lo
	v_cmp_eq_u32_e32 vcc_lo, 14, v18
	;; [unrolled: 2-line block ×3, first 2 shown]
	s_delay_alu instid0(VALU_DEP_4) | instskip(SKIP_3) | instid1(VALU_DEP_2)
	v_cndmask_b32_e32 v6, v3, v14, vcc_lo
	s_waitcnt lgkmcnt(0)
	v_mov_b32_dpp v3, v7 quad_perm:[1,2,3,0] row_mask:0xf bank_mask:0xf
	v_cmp_eq_u32_e32 vcc_lo, 15, v18
	v_cndmask_b32_e32 v2, v2, v3, vcc_lo
	v_cmp_eq_u32_e32 vcc_lo, 7, v19
	v_cndmask_b32_e32 v7, v54, v15, vcc_lo
	v_cmp_eq_u32_e32 vcc_lo, 7, v17
	v_cndmask_b32_e32 v50, v50, v15, vcc_lo
	v_cmp_eq_u32_e32 vcc_lo, 7, v41
	v_cndmask_b32_e32 v6, v6, v15, vcc_lo
	v_cmp_eq_u32_e32 vcc_lo, 8, v19
	v_cndmask_b32_e32 v7, v7, v8, vcc_lo
	v_cmp_eq_u32_e32 vcc_lo, 8, v17
	v_cndmask_b32_e32 v50, v50, v8, vcc_lo
	v_cmp_eq_u32_e32 vcc_lo, 8, v41
	v_cndmask_b32_e32 v6, v6, v8, vcc_lo
	v_cmp_eq_u32_e32 vcc_lo, 9, v19
	v_cndmask_b32_e32 v7, v7, v9, vcc_lo
	v_cmp_eq_u32_e32 vcc_lo, 9, v17
	v_mov_b32_dpp v2, v2 quad_perm:[1,2,3,0] row_mask:0xf bank_mask:0xf
	v_cndmask_b32_e32 v50, v50, v9, vcc_lo
	v_cmp_eq_u32_e32 vcc_lo, 9, v41
	v_cndmask_b32_e32 v6, v6, v9, vcc_lo
	v_cmp_eq_u32_e32 vcc_lo, 10, v19
	;; [unrolled: 2-line block ×21, first 2 shown]
	s_delay_alu instid0(VALU_DEP_2) | instskip(SKIP_3) | instid1(VALU_DEP_2)
	v_cndmask_b32_e32 v50, v50, v51, vcc_lo
	v_cmp_eq_u32_e32 vcc_lo, 1, v43
	v_cndmask_b32_e32 v55, v0, v1, vcc_lo
	v_cmp_eq_u32_e32 vcc_lo, 2, v43
	;; [unrolled: 2-line block ×4, first 2 shown]
	s_delay_alu instid0(VALU_DEP_2)
	v_cndmask_b32_e32 v56, v56, v51, vcc_lo
	v_cmp_eq_u32_e32 vcc_lo, 3, v42
	v_cndmask_b32_e32 v50, v50, v52, vcc_lo
	v_cmp_eq_u32_e32 vcc_lo, 3, v43
	;; [unrolled: 2-line block ×41, first 2 shown]
	s_delay_alu instid0(VALU_DEP_2) | instskip(SKIP_3) | instid1(VALU_DEP_2)
	v_cndmask_b32_e32 v50, v50, v51, vcc_lo
	v_cmp_eq_u32_e32 vcc_lo, 1, v44
	v_cndmask_b32_e32 v58, v0, v1, vcc_lo
	v_cmp_eq_u32_e32 vcc_lo, 2, v44
	v_cndmask_b32_e32 v58, v58, v51, vcc_lo
	v_cmp_eq_u32_e32 vcc_lo, 1, v23
	v_cndmask_b32_e32 v59, v0, v1, vcc_lo
	v_cmp_eq_u32_e32 vcc_lo, 2, v23
	s_delay_alu instid0(VALU_DEP_2)
	v_cndmask_b32_e32 v59, v59, v51, vcc_lo
	v_cmp_eq_u32_e32 vcc_lo, 3, v22
	v_cndmask_b32_e32 v50, v50, v52, vcc_lo
	v_cmp_eq_u32_e32 vcc_lo, 3, v44
	;; [unrolled: 2-line block ×37, first 2 shown]
	v_cndmask_b32_e32 v60, v50, v3, vcc_lo
	v_cndmask_b32_e64 v50, v0, v1, s0
	v_cndmask_b32_e64 v0, v0, v1, s78
	v_cmp_eq_u32_e32 vcc_lo, 15, v44
	s_delay_alu instid0(VALU_DEP_3)
	v_cndmask_b32_e64 v1, v50, v51, s2
	v_cndmask_b32_e64 v50, v61, v51, s18
	;; [unrolled: 1-line block ×81, first 2 shown]
	ds_bpermute_b32 v51, v21, v4
	v_cndmask_b32_e64 v9, v10, v3, s77
	v_cndmask_b32_e64 v0, v0, v3, s92
	ds_bpermute_b32 v15, v24, v5
	v_cndmask_b32_e64 v50, v1, v3, s16
	ds_bpermute_b32 v14, v25, v8
	v_mov_b32_dpp v1, v9 quad_perm:[1,2,3,0] row_mask:0xf bank_mask:0xf
	v_mov_b32_dpp v0, v0 quad_perm:[1,2,3,0] row_mask:0xf bank_mask:0xf
	ds_bpermute_b32 v11, v29, v2
	v_mov_b32_dpp v2, v57 quad_perm:[2,3,0,1] row_mask:0xf bank_mask:0xf
	v_mov_b32_dpp v9, v54 quad_perm:[2,3,0,1] row_mask:0xf bank_mask:0xf
	ds_bpermute_b32 v13, v27, v1
	ds_bpermute_b32 v12, v28, v0
	v_mov_b32_dpp v0, v7 quad_perm:[1,2,3,0] row_mask:0xf bank_mask:0xf
	v_cndmask_b32_e32 v58, v58, v3, vcc_lo
	v_cmp_eq_u32_e32 vcc_lo, 15, v23
	ds_bpermute_b32 v10, v30, v0
	s_waitcnt lgkmcnt(6)
	v_cndmask_b32_e64 v1, v50, v51, s95
	v_cndmask_b32_e32 v59, v59, v3, vcc_lo
	s_waitcnt lgkmcnt(5)
	s_delay_alu instid0(VALU_DEP_2) | instskip(NEXT) | instid1(VALU_DEP_2)
	v_cndmask_b32_e64 v1, v1, v15, s96
	v_mov_b32_dpp v7, v59 quad_perm:[3,0,1,2] row_mask:0xf bank_mask:0xf
	s_waitcnt lgkmcnt(4)
	s_delay_alu instid0(VALU_DEP_2)
	v_cndmask_b32_e64 v0, v1, v14, s97
	v_mov_b32_dpp v1, v6 quad_perm:[2,3,0,1] row_mask:0xf bank_mask:0xf
	ds_bpermute_b32 v6, v24, v2
	v_mov_b32_dpp v2, v56 quad_perm:[3,0,1,2] row_mask:0xf bank_mask:0xf
	ds_bpermute_b32 v7, v30, v7
	s_waitcnt lgkmcnt(4)
	v_cndmask_b32_e64 v0, v0, v13, s98
	ds_bpermute_b32 v8, v21, v1
	v_mov_b32_dpp v1, v55 quad_perm:[2,3,0,1] row_mask:0xf bank_mask:0xf
	ds_bpermute_b32 v4, v27, v2
	s_waitcnt lgkmcnt(5)
	v_cndmask_b32_e64 v0, v0, v12, s99
	ds_bpermute_b32 v5, v25, v1
	v_mov_b32_dpp v1, v60 quad_perm:[3,0,1,2] row_mask:0xf bank_mask:0xf
	v_cndmask_b32_e64 v0, v0, v11, s100
	ds_bpermute_b32 v3, v28, v1
	v_mov_b32_dpp v1, v58 quad_perm:[3,0,1,2] row_mask:0xf bank_mask:0xf
	s_waitcnt lgkmcnt(6)
	v_cndmask_b32_e64 v0, v0, v10, s101
	ds_bpermute_b32 v2, v29, v1
	v_cndmask_b32_e64 v0, v0, v9, s102
	s_waitcnt lgkmcnt(4)
	s_delay_alu instid0(VALU_DEP_1) | instskip(NEXT) | instid1(VALU_DEP_1)
	v_cndmask_b32_e64 v0, v0, v8, s103
	v_cndmask_b32_e64 v0, v0, v6, s104
	s_waitcnt lgkmcnt(2)
	s_delay_alu instid0(VALU_DEP_1) | instskip(SKIP_1) | instid1(VALU_DEP_2)
	v_cndmask_b32_e64 v0, v0, v5, vcc_hi
	v_cmp_eq_u32_e32 vcc_lo, 13, v26
	v_cndmask_b32_e64 v0, v0, v4, s15
	s_waitcnt lgkmcnt(1)
	s_delay_alu instid0(VALU_DEP_1) | instskip(SKIP_2) | instid1(VALU_DEP_2)
	v_cndmask_b32_e32 v0, v0, v3, vcc_lo
	v_cmp_eq_u32_e32 vcc_lo, 14, v26
	s_waitcnt lgkmcnt(0)
	v_cndmask_b32_e32 v0, v0, v2, vcc_lo
	v_cmp_eq_u32_e32 vcc_lo, 1, v45
	v_cndmask_b32_e32 v1, v50, v51, vcc_lo
	v_cmp_eq_u32_e32 vcc_lo, 2, v45
	s_delay_alu instid0(VALU_DEP_2) | instskip(SKIP_1) | instid1(VALU_DEP_2)
	v_cndmask_b32_e32 v1, v1, v15, vcc_lo
	v_cmp_eq_u32_e32 vcc_lo, 3, v45
	v_cndmask_b32_e32 v1, v1, v14, vcc_lo
	v_cmp_eq_u32_e32 vcc_lo, 4, v45
	s_delay_alu instid0(VALU_DEP_2) | instskip(SKIP_1) | instid1(VALU_DEP_2)
	;; [unrolled: 5-line block ×6, first 2 shown]
	v_cndmask_b32_e32 v1, v1, v4, vcc_lo
	v_cmp_eq_u32_e32 vcc_lo, 13, v45
	v_cndmask_b32_e32 v1, v1, v3, vcc_lo
	v_cmp_eq_u32_e32 vcc_lo, 14, v45
	s_delay_alu instid0(VALU_DEP_2) | instskip(SKIP_3) | instid1(VALU_DEP_4)
	v_cndmask_b32_e32 v1, v1, v2, vcc_lo
	v_cmp_eq_u32_e32 vcc_lo, 15, v26
	v_cndmask_b32_e32 v0, v0, v7, vcc_lo
	v_cmp_eq_u32_e32 vcc_lo, 15, v45
	;; [unrolled: 2-line block ×207, first 2 shown]
	ds_bpermute_b32 v12, v29, v5
	v_cndmask_b32_e32 v52, v13, v7, vcc_lo
	v_cmp_eq_u32_e32 vcc_lo, 15, v36
	ds_bpermute_b32 v13, v29, v6
	v_cndmask_b32_e32 v53, v14, v7, vcc_lo
	v_cmp_eq_u32_e32 vcc_lo, 15, v37
	ds_bpermute_b32 v14, v28, v8
	ds_bpermute_b32 v8, v27, v10
	;; [unrolled: 1-line block ×3, first 2 shown]
	v_cndmask_b32_e32 v54, v15, v7, vcc_lo
	v_cmp_eq_u32_e32 vcc_lo, 15, v38
	ds_bpermute_b32 v15, v28, v9
	ds_bpermute_b32 v9, v27, v11
	;; [unrolled: 1-line block ×3, first 2 shown]
	v_cndmask_b32_e32 v50, v50, v7, vcc_lo
	v_cmp_eq_u32_e32 vcc_lo, 15, v39
	ds_bpermute_b32 v5, v24, v50
	v_cndmask_b32_e32 v51, v51, v7, vcc_lo
	v_cmp_eq_u32_e32 vcc_lo, 15, v40
	ds_bpermute_b32 v6, v21, v51
	v_cndmask_b32_e32 v7, v2, v7, vcc_lo
	ds_bpermute_b32 v2, v30, v3
	ds_bpermute_b32 v3, v30, v4
	;; [unrolled: 1-line block ×4, first 2 shown]
	s_cbranch_scc1 .LBB19_2
; %bb.3:
	v_readlane_b32 s15, v65, 2
	s_branch .LBB19_5
.LBB19_4:
	v_mov_b32_e32 v0, v16
.LBB19_5:
	v_readlane_b32 s0, v65, 0
	v_readlane_b32 s1, v65, 1
	s_delay_alu instid0(VALU_DEP_3) | instskip(SKIP_2) | instid1(VALU_DEP_1)
	v_lshl_or_b32 v16, s15, 12, v16
	v_mov_b32_e32 v17, 0
	s_load_b64 s[0:1], s[0:1], 0x0
	v_lshlrev_b64 v[16:17], 2, v[16:17]
	s_waitcnt lgkmcnt(0)
	s_delay_alu instid0(VALU_DEP_1) | instskip(NEXT) | instid1(VALU_DEP_2)
	v_add_co_u32 v16, vcc_lo, s0, v16
	v_add_co_ci_u32_e32 v17, vcc_lo, s1, v17, vcc_lo
	s_clause 0x3
	global_store_b128 v[16:17], v[0:3], off
	global_store_b128 v[16:17], v[12:15], off offset:16
	global_store_b128 v[16:17], v[8:11], off offset:32
	;; [unrolled: 1-line block ×3, first 2 shown]
	s_nop 0
	s_sendmsg sendmsg(MSG_DEALLOC_VGPRS)
	s_endpgm
	.section	.rodata,"a",@progbits
	.p2align	6, 0x0
	.amdhsa_kernel _Z20warp_exchange_kernelILj256ELj16ELj32EN6common25BlockedToStripedShuffleOpEiEvPT3_j
		.amdhsa_group_segment_fixed_size 0
		.amdhsa_private_segment_fixed_size 0
		.amdhsa_kernarg_size 12
		.amdhsa_user_sgpr_count 15
		.amdhsa_user_sgpr_dispatch_ptr 0
		.amdhsa_user_sgpr_queue_ptr 0
		.amdhsa_user_sgpr_kernarg_segment_ptr 1
		.amdhsa_user_sgpr_dispatch_id 0
		.amdhsa_user_sgpr_private_segment_size 0
		.amdhsa_wavefront_size32 1
		.amdhsa_uses_dynamic_stack 0
		.amdhsa_enable_private_segment 0
		.amdhsa_system_sgpr_workgroup_id_x 1
		.amdhsa_system_sgpr_workgroup_id_y 0
		.amdhsa_system_sgpr_workgroup_id_z 0
		.amdhsa_system_sgpr_workgroup_info 0
		.amdhsa_system_vgpr_workitem_id 0
		.amdhsa_next_free_vgpr 66
		.amdhsa_next_free_sgpr 105
		.amdhsa_reserve_vcc 1
		.amdhsa_float_round_mode_32 0
		.amdhsa_float_round_mode_16_64 0
		.amdhsa_float_denorm_mode_32 3
		.amdhsa_float_denorm_mode_16_64 3
		.amdhsa_dx10_clamp 1
		.amdhsa_ieee_mode 1
		.amdhsa_fp16_overflow 0
		.amdhsa_workgroup_processor_mode 1
		.amdhsa_memory_ordered 1
		.amdhsa_forward_progress 0
		.amdhsa_shared_vgpr_count 0
		.amdhsa_exception_fp_ieee_invalid_op 0
		.amdhsa_exception_fp_denorm_src 0
		.amdhsa_exception_fp_ieee_div_zero 0
		.amdhsa_exception_fp_ieee_overflow 0
		.amdhsa_exception_fp_ieee_underflow 0
		.amdhsa_exception_fp_ieee_inexact 0
		.amdhsa_exception_int_div_zero 0
	.end_amdhsa_kernel
	.section	.text._Z20warp_exchange_kernelILj256ELj16ELj32EN6common25BlockedToStripedShuffleOpEiEvPT3_j,"axG",@progbits,_Z20warp_exchange_kernelILj256ELj16ELj32EN6common25BlockedToStripedShuffleOpEiEvPT3_j,comdat
.Lfunc_end19:
	.size	_Z20warp_exchange_kernelILj256ELj16ELj32EN6common25BlockedToStripedShuffleOpEiEvPT3_j, .Lfunc_end19-_Z20warp_exchange_kernelILj256ELj16ELj32EN6common25BlockedToStripedShuffleOpEiEvPT3_j
                                        ; -- End function
	.section	.AMDGPU.csdata,"",@progbits
; Kernel info:
; codeLenInByte = 5756
; NumSgprs: 107
; NumVgprs: 66
; ScratchSize: 0
; MemoryBound: 0
; FloatMode: 240
; IeeeMode: 1
; LDSByteSize: 0 bytes/workgroup (compile time only)
; SGPRBlocks: 13
; VGPRBlocks: 8
; NumSGPRsForWavesPerEU: 107
; NumVGPRsForWavesPerEU: 66
; Occupancy: 16
; WaveLimiterHint : 0
; COMPUTE_PGM_RSRC2:SCRATCH_EN: 0
; COMPUTE_PGM_RSRC2:USER_SGPR: 15
; COMPUTE_PGM_RSRC2:TRAP_HANDLER: 0
; COMPUTE_PGM_RSRC2:TGID_X_EN: 1
; COMPUTE_PGM_RSRC2:TGID_Y_EN: 0
; COMPUTE_PGM_RSRC2:TGID_Z_EN: 0
; COMPUTE_PGM_RSRC2:TIDIG_COMP_CNT: 0
	.section	.text._Z20warp_exchange_kernelILj256ELj32ELj32EN6common25BlockedToStripedShuffleOpEiEvPT3_j,"axG",@progbits,_Z20warp_exchange_kernelILj256ELj32ELj32EN6common25BlockedToStripedShuffleOpEiEvPT3_j,comdat
	.protected	_Z20warp_exchange_kernelILj256ELj32ELj32EN6common25BlockedToStripedShuffleOpEiEvPT3_j ; -- Begin function _Z20warp_exchange_kernelILj256ELj32ELj32EN6common25BlockedToStripedShuffleOpEiEvPT3_j
	.globl	_Z20warp_exchange_kernelILj256ELj32ELj32EN6common25BlockedToStripedShuffleOpEiEvPT3_j
	.p2align	8
	.type	_Z20warp_exchange_kernelILj256ELj32ELj32EN6common25BlockedToStripedShuffleOpEiEvPT3_j,@function
_Z20warp_exchange_kernelILj256ELj32ELj32EN6common25BlockedToStripedShuffleOpEiEvPT3_j: ; @_Z20warp_exchange_kernelILj256ELj32ELj32EN6common25BlockedToStripedShuffleOpEiEvPT3_j
; %bb.0:
	s_load_b32 s3, s[0:1], 0x8
	v_lshlrev_b32_e32 v32, 5, v0
	s_delay_alu instid0(VALU_DEP_1)
	v_or_b32_e32 v1, 1, v32
	v_or_b32_e32 v2, 2, v32
	;; [unrolled: 1-line block ×31, first 2 shown]
	s_waitcnt lgkmcnt(0)
	s_cmp_eq_u32 s3, 0
	s_cbranch_scc1 .LBB20_3
; %bb.1:
	v_mbcnt_lo_u32_b32 v0, -1, 0
	v_mov_b32_e32 v106, 0x5c
	v_mov_b32_e32 v107, 0x64
	;; [unrolled: 1-line block ×4, first 2 shown]
	v_dual_mov_b32 v104, 0x4c :: v_dual_and_b32 v33, 16, v0
	v_and_b32_e32 v48, 8, v0
	v_and_b32_e32 v63, 4, v0
	;; [unrolled: 1-line block ×3, first 2 shown]
	s_delay_alu instid0(VALU_DEP_4)
	v_cmp_eq_u32_e32 vcc_lo, 0, v33
	v_dual_mov_b32 v105, 0x54 :: v_dual_lshlrev_b32 v34, 2, v33
	v_dual_mov_b32 v90, 0x58 :: v_dual_lshlrev_b32 v49, 2, v48
	v_cndmask_b32_e64 v33, 4, 0x44, vcc_lo
	v_cndmask_b32_e64 v35, 8, 0x48, vcc_lo
	;; [unrolled: 1-line block ×9, first 2 shown]
	v_dual_mov_b32 v92, 0x68 :: v_dual_lshlrev_b32 v65, 2, v63
	v_cndmask_b32_e64 v43, 40, 0x68, vcc_lo
	v_cndmask_b32_e64 v44, 44, 0x6c, vcc_lo
	v_dual_mov_b32 v77, 0x70 :: v_dual_lshlrev_b32 v78, 2, v79
	v_cndmask_b32_e64 v45, 48, 0x70, vcc_lo
	v_cndmask_b32_e64 v46, 52, 0x74, vcc_lo
	;; [unrolled: 1-line block ×3, first 2 shown]
	v_cmp_eq_u32_e64 s2, 0, v48
	v_mov_b32_e32 v110, 0x7c
	v_cndmask_b32_e64 v48, 60, 0x7c, vcc_lo
	v_cmp_eq_u32_e32 vcc_lo, 0, v63
	v_and_b32_e32 v0, 1, v0
	v_mov_b32_e32 v94, 0x78
	v_cndmask_b32_e64 v50, 4, 36, s2
	v_cndmask_b32_e64 v51, 8, 40, s2
	;; [unrolled: 1-line block ×3, first 2 shown]
	v_lshlrev_b32_e32 v93, 2, v0
	v_cndmask_b32_e64 v53, 16, 48, s2
	v_cndmask_b32_e64 v54, 20, 52, s2
	;; [unrolled: 1-line block ×12, first 2 shown]
	v_cndmask_b32_e64 v66, 4, 20, vcc_lo
	v_cndmask_b32_e64 v67, 8, 24, vcc_lo
	;; [unrolled: 1-line block ×8, first 2 shown]
	v_cndmask_b32_e32 v74, 0x44, v105, vcc_lo
	v_cndmask_b32_e32 v75, 0x48, v90, vcc_lo
	;; [unrolled: 1-line block ×4, first 2 shown]
	v_xor_b32_e32 v81, 8, v78
	v_cndmask_b32_e32 v78, 0x64, v109, vcc_lo
	v_cmp_eq_u32_e64 s2, 0, v79
	v_cndmask_b32_e32 v79, 0x68, v94, vcc_lo
	v_cndmask_b32_e32 v80, 0x6c, v110, vcc_lo
	v_cmp_eq_u32_e32 vcc_lo, 0, v0
	v_xor_b32_e32 v96, 4, v93
	v_cndmask_b32_e64 v111, 4, 12, s2
	v_xad_u32 v34, v34, 64, 0
	v_xad_u32 v49, v49, 32, 0
	v_cndmask_b32_e64 v0, 8, 12, vcc_lo
	v_xad_u32 v65, v65, 16, 0
	v_or_b32_e32 v81, 0, v81
	v_cndmask_b32_e64 v82, 16, 24, s2
	v_cndmask_b32_e64 v83, 20, 28, s2
	;; [unrolled: 1-line block ×14, first 2 shown]
	v_or_b32_e32 v96, 0, v96
	v_cndmask_b32_e64 v97, 16, 20, vcc_lo
	v_cndmask_b32_e64 v98, 24, 28, vcc_lo
	v_cndmask_b32_e64 v99, 32, 36, vcc_lo
	v_cndmask_b32_e64 v100, 40, 44, vcc_lo
	v_cndmask_b32_e64 v101, 48, 52, vcc_lo
	v_cndmask_b32_e64 v102, 56, 60, vcc_lo
	v_cndmask_b32_e64 v103, 64, 0x44, vcc_lo
	v_cndmask_b32_e32 v104, 0x48, v104, vcc_lo
	v_cndmask_b32_e32 v105, 0x50, v105, vcc_lo
	;; [unrolled: 1-line block ×7, first 2 shown]
	v_or_b32_e32 v111, 0, v111
	v_or_b32_e32 v112, 0, v0
	v_mov_b32_e32 v0, v32
.LBB20_2:                               ; =>This Inner Loop Header: Depth=1
	scratch_store_b128 off, v[0:3], off
	s_waitcnt vmcnt(6)
	scratch_store_b128 off, v[16:19], off offset:16
	s_waitcnt vmcnt(2)
	scratch_store_b128 off, v[28:31], off offset:32
	s_waitcnt vmcnt(1)
	s_clause 0x1
	scratch_store_b128 off, v[24:27], off offset:48
	scratch_store_b128 off, v[20:23], off offset:64
	scratch_load_b32 v0, v34, off
	s_add_i32 s3, s3, -1
	s_delay_alu instid0(SALU_CYCLE_1)
	s_cmp_lg_u32 s3, 0
	s_waitcnt vmcnt(0)
	ds_swizzle_b32 v0, v0 offset:swizzle(SWAP,16)
	scratch_store_b128 off, v[8:11], off offset:80
	s_waitcnt lgkmcnt(0)
	scratch_store_b32 v34, v0, off
	scratch_load_b32 v0, v33, off
	s_waitcnt vmcnt(0)
	ds_swizzle_b32 v0, v0 offset:swizzle(SWAP,16)
	scratch_store_b128 off, v[4:7], off offset:96
	s_waitcnt lgkmcnt(0)
	scratch_store_b32 v33, v0, off
	scratch_load_b32 v0, v35, off
	;; [unrolled: 6-line block ×3, first 2 shown]
	s_waitcnt vmcnt(0)
	ds_swizzle_b32 v0, v0 offset:swizzle(SWAP,16)
	s_waitcnt lgkmcnt(0)
	scratch_store_b32 v36, v0, off
	scratch_load_b32 v0, v37, off
	s_waitcnt vmcnt(0)
	ds_swizzle_b32 v0, v0 offset:swizzle(SWAP,16)
	s_waitcnt lgkmcnt(0)
	scratch_store_b32 v37, v0, off
	scratch_load_b32 v0, v38, off
	s_waitcnt vmcnt(0)
	ds_swizzle_b32 v0, v0 offset:swizzle(SWAP,16)
	s_waitcnt lgkmcnt(0)
	scratch_store_b32 v38, v0, off
	scratch_load_b32 v0, v39, off
	s_waitcnt vmcnt(0)
	ds_swizzle_b32 v0, v0 offset:swizzle(SWAP,16)
	s_waitcnt lgkmcnt(0)
	scratch_store_b32 v39, v0, off
	scratch_load_b32 v0, v40, off
	s_waitcnt vmcnt(0)
	ds_swizzle_b32 v0, v0 offset:swizzle(SWAP,16)
	s_waitcnt lgkmcnt(0)
	scratch_store_b32 v40, v0, off
	scratch_load_b32 v0, v41, off
	s_waitcnt vmcnt(0)
	ds_swizzle_b32 v0, v0 offset:swizzle(SWAP,16)
	s_waitcnt lgkmcnt(0)
	scratch_store_b32 v41, v0, off
	s_clause 0x1
	scratch_load_b32 v0, v42, off
	scratch_load_b32 v1, v49, off
	s_waitcnt vmcnt(1)
	ds_swizzle_b32 v0, v0 offset:swizzle(SWAP,16)
	s_waitcnt vmcnt(0)
	ds_swizzle_b32 v1, v1 offset:swizzle(SWAP,8)
	s_waitcnt lgkmcnt(1)
	scratch_store_b32 v42, v0, off
	s_waitcnt lgkmcnt(0)
	scratch_store_b32 v49, v1, off
	s_clause 0x1
	scratch_load_b32 v0, v43, off
	scratch_load_b32 v1, v50, off
	s_waitcnt vmcnt(1)
	ds_swizzle_b32 v0, v0 offset:swizzle(SWAP,16)
	s_waitcnt vmcnt(0)
	ds_swizzle_b32 v1, v1 offset:swizzle(SWAP,8)
	s_waitcnt lgkmcnt(1)
	scratch_store_b32 v43, v0, off
	;; [unrolled: 11-line block ×5, first 2 shown]
	s_waitcnt lgkmcnt(0)
	scratch_store_b32 v53, v1, off
	s_clause 0x2
	scratch_load_b32 v0, v47, off
	scratch_load_b32 v1, v54, off
	;; [unrolled: 1-line block ×3, first 2 shown]
	s_waitcnt vmcnt(2)
	ds_swizzle_b32 v0, v0 offset:swizzle(SWAP,16)
	s_waitcnt vmcnt(1)
	ds_swizzle_b32 v1, v1 offset:swizzle(SWAP,8)
	;; [unrolled: 2-line block ×3, first 2 shown]
	s_waitcnt lgkmcnt(2)
	scratch_store_b32 v47, v0, off
	s_waitcnt lgkmcnt(1)
	scratch_store_b32 v54, v1, off
	s_clause 0x1
	scratch_load_b32 v0, v48, off
	scratch_load_b32 v1, v55, off
	s_waitcnt lgkmcnt(0)
	scratch_store_b32 v65, v2, off
	scratch_load_b32 v2, v66, off
	s_waitcnt vmcnt(2)
	ds_swizzle_b32 v0, v0 offset:swizzle(SWAP,16)
	s_waitcnt vmcnt(1)
	ds_swizzle_b32 v1, v1 offset:swizzle(SWAP,8)
	s_waitcnt lgkmcnt(1)
	scratch_store_b32 v48, v0, off
	s_waitcnt lgkmcnt(0)
	scratch_store_b32 v55, v1, off
	s_clause 0x1
	scratch_load_b32 v0, v56, off
	scratch_load_b32 v1, v57, off
	s_waitcnt vmcnt(2)
	ds_swizzle_b32 v2, v2 offset:swizzle(SWAP,4)
	s_waitcnt lgkmcnt(0)
	scratch_store_b32 v66, v2, off
	scratch_load_b32 v2, v67, off
	s_waitcnt vmcnt(2)
	ds_swizzle_b32 v0, v0 offset:swizzle(SWAP,8)
	s_waitcnt vmcnt(1)
	ds_swizzle_b32 v1, v1 offset:swizzle(SWAP,8)
	s_waitcnt lgkmcnt(1)
	scratch_store_b32 v56, v0, off
	s_waitcnt lgkmcnt(0)
	scratch_store_b32 v57, v1, off
	scratch_load_b32 v0, v58, off
	s_waitcnt vmcnt(1)
	ds_swizzle_b32 v2, v2 offset:swizzle(SWAP,4)
	s_waitcnt lgkmcnt(0)
	scratch_store_b32 v67, v2, off
	s_clause 0x2
	scratch_load_b32 v1, v68, off
	scratch_load_b32 v2, v81, off
	;; [unrolled: 1-line block ×3, first 2 shown]
	s_waitcnt vmcnt(3)
	ds_swizzle_b32 v0, v0 offset:swizzle(SWAP,8)
	s_waitcnt lgkmcnt(0)
	scratch_store_b32 v58, v0, off
	scratch_load_b32 v0, v59, off
	s_waitcnt vmcnt(3)
	ds_swizzle_b32 v1, v1 offset:swizzle(SWAP,4)
	s_waitcnt vmcnt(2)
	ds_swizzle_b32 v2, v2 offset:swizzle(SWAP,2)
	s_waitcnt lgkmcnt(1)
	scratch_store_b32 v68, v1, off
	s_waitcnt lgkmcnt(0)
	scratch_store_b32 v81, v2, off
	s_clause 0x1
	scratch_load_b32 v1, v111, off
	scratch_load_b32 v2, v82, off
	s_waitcnt vmcnt(3)
	ds_swizzle_b32 v3, v3 offset:swizzle(SWAP,4)
	s_waitcnt lgkmcnt(0)
	scratch_store_b32 v69, v3, off
	scratch_load_b32 v3, v70, off
	s_waitcnt vmcnt(3)
	ds_swizzle_b32 v0, v0 offset:swizzle(SWAP,8)
	s_waitcnt lgkmcnt(0)
	scratch_store_b32 v59, v0, off
	scratch_load_b32 v0, v60, off
	s_waitcnt vmcnt(3)
	ds_swizzle_b32 v1, v1 offset:swizzle(SWAP,2)
	s_waitcnt vmcnt(2)
	ds_swizzle_b32 v2, v2 offset:swizzle(SWAP,2)
	s_waitcnt lgkmcnt(1)
	scratch_store_b32 v111, v1, off
	s_waitcnt lgkmcnt(0)
	scratch_store_b32 v82, v2, off
	s_clause 0x1
	scratch_load_b32 v1, v83, off
	scratch_load_b32 v2, v112, off
	s_waitcnt vmcnt(3)
	ds_swizzle_b32 v3, v3 offset:swizzle(SWAP,4)
	s_waitcnt lgkmcnt(0)
	scratch_store_b32 v70, v3, off
	s_waitcnt vmcnt(2)
	ds_swizzle_b32 v0, v0 offset:swizzle(SWAP,8)
	s_waitcnt lgkmcnt(0)
	scratch_store_b32 v60, v0, off
	s_clause 0x2
	scratch_load_b32 v0, v61, off
	scratch_load_b32 v3, v71, off
	;; [unrolled: 1-line block ×3, first 2 shown]
	s_waitcnt vmcnt(4)
	ds_swizzle_b32 v1, v1 offset:swizzle(SWAP,2)
	s_waitcnt vmcnt(3)
	ds_swizzle_b32 v2, v2 offset:swizzle(SWAP,1)
	;; [unrolled: 2-line block ×3, first 2 shown]
	ds_swizzle_b32 v0, v0 offset:swizzle(SWAP,8)
	s_waitcnt vmcnt(0)
	ds_swizzle_b32 v4, v4 offset:swizzle(SWAP,1)
	s_waitcnt lgkmcnt(2)
	scratch_store_b32 v71, v3, off
	s_waitcnt lgkmcnt(1)
	scratch_store_b32 v61, v0, off
	s_clause 0x2
	scratch_load_b32 v0, v62, off
	scratch_load_b32 v3, v72, off
	;; [unrolled: 1-line block ×3, first 2 shown]
	s_waitcnt vmcnt(1)
	ds_swizzle_b32 v3, v3 offset:swizzle(SWAP,4)
	ds_swizzle_b32 v0, v0 offset:swizzle(SWAP,8)
	scratch_store_b32 v83, v1, off
	scratch_load_b32 v1, v97, off
	s_waitcnt vmcnt(1)
	ds_swizzle_b32 v5, v5 offset:swizzle(SWAP,2)
	s_waitcnt lgkmcnt(1)
	scratch_store_b32 v62, v0, off
	s_clause 0x1
	scratch_load_b32 v0, v63, off
	scratch_load_b32 v6, v73, off
	scratch_store_b32 v72, v3, off
	s_waitcnt lgkmcnt(0)
	scratch_store_b32 v84, v5, off
	s_waitcnt vmcnt(2)
	ds_swizzle_b32 v7, v1 offset:swizzle(SWAP,1)
	s_clause 0x1
	scratch_load_b32 v1, v85, off
	scratch_load_b32 v3, v98, off
	s_waitcnt vmcnt(3)
	ds_swizzle_b32 v0, v0 offset:swizzle(SWAP,8)
	s_waitcnt vmcnt(2)
	ds_swizzle_b32 v5, v6 offset:swizzle(SWAP,4)
	s_waitcnt lgkmcnt(1)
	scratch_store_b32 v63, v0, off
	s_waitcnt lgkmcnt(0)
	scratch_store_b32 v73, v5, off
	s_clause 0x2
	scratch_load_b32 v0, v64, off
	scratch_load_b32 v5, v74, off
	;; [unrolled: 1-line block ×3, first 2 shown]
	s_waitcnt vmcnt(4)
	ds_swizzle_b32 v1, v1 offset:swizzle(SWAP,2)
	s_waitcnt vmcnt(3)
	ds_swizzle_b32 v8, v3 offset:swizzle(SWAP,1)
	s_waitcnt lgkmcnt(1)
	scratch_store_b32 v85, v1, off
	scratch_load_b32 v1, v99, off
	s_waitcnt vmcnt(3)
	ds_swizzle_b32 v0, v0 offset:swizzle(SWAP,8)
	s_waitcnt vmcnt(2)
	ds_swizzle_b32 v3, v5 offset:swizzle(SWAP,4)
	;; [unrolled: 2-line block ×3, first 2 shown]
	s_waitcnt lgkmcnt(2)
	scratch_store_b32 v64, v0, off
	s_waitcnt lgkmcnt(1)
	scratch_store_b32 v74, v3, off
	s_clause 0x1
	scratch_load_b32 v0, v75, off
	scratch_load_b32 v3, v77, off
	s_waitcnt lgkmcnt(0)
	scratch_store_b32 v86, v5, off
	s_waitcnt vmcnt(2)
	ds_swizzle_b32 v6, v1 offset:swizzle(SWAP,1)
	s_clause 0x1
	scratch_load_b32 v1, v87, off
	scratch_load_b32 v5, v100, off
	s_waitcnt vmcnt(3)
	ds_swizzle_b32 v0, v0 offset:swizzle(SWAP,4)
	s_waitcnt vmcnt(2)
	ds_swizzle_b32 v3, v3 offset:swizzle(SWAP,4)
	s_waitcnt lgkmcnt(1)
	scratch_store_b32 v75, v0, off
	s_waitcnt lgkmcnt(0)
	scratch_store_b32 v77, v3, off
	s_clause 0x2
	scratch_load_b32 v0, v76, off
	scratch_load_b32 v3, v78, off
	scratch_load_b32 v9, v88, off
	s_waitcnt vmcnt(4)
	ds_swizzle_b32 v1, v1 offset:swizzle(SWAP,2)
	s_waitcnt vmcnt(3)
	ds_swizzle_b32 v12, v5 offset:swizzle(SWAP,1)
	s_waitcnt lgkmcnt(1)
	scratch_store_b32 v87, v1, off
	scratch_load_b32 v1, v101, off
	s_waitcnt vmcnt(3)
	ds_swizzle_b32 v0, v0 offset:swizzle(SWAP,4)
	s_waitcnt vmcnt(2)
	ds_swizzle_b32 v3, v3 offset:swizzle(SWAP,4)
	;; [unrolled: 2-line block ×3, first 2 shown]
	s_waitcnt lgkmcnt(2)
	scratch_store_b32 v76, v0, off
	s_waitcnt lgkmcnt(1)
	scratch_store_b32 v78, v3, off
	scratch_load_b32 v9, v79, off
	s_waitcnt lgkmcnt(0)
	scratch_store_b32 v88, v5, off
	s_clause 0x1
	scratch_load_b32 v5, v89, off
	scratch_load_b32 v10, v102, off
	s_clause 0x1
	scratch_store_b32 v112, v2, off
	scratch_store_b32 v96, v4, off
	s_waitcnt vmcnt(3)
	ds_swizzle_b32 v13, v1 offset:swizzle(SWAP,1)
	scratch_load_b128 v[0:3], off, off
	s_waitcnt vmcnt(3)
	ds_swizzle_b32 v4, v9 offset:swizzle(SWAP,4)
	s_waitcnt vmcnt(2)
	ds_swizzle_b32 v5, v5 offset:swizzle(SWAP,2)
	;; [unrolled: 2-line block ×3, first 2 shown]
	s_waitcnt lgkmcnt(2)
	scratch_store_b32 v79, v4, off
	s_clause 0x2
	scratch_load_b32 v4, v80, off
	scratch_load_b32 v9, v90, off
	;; [unrolled: 1-line block ×3, first 2 shown]
	s_waitcnt lgkmcnt(1)
	scratch_store_b32 v89, v5, off
	scratch_load_b32 v5, v103, off
	s_waitcnt vmcnt(3)
	ds_swizzle_b32 v4, v4 offset:swizzle(SWAP,4)
	s_waitcnt vmcnt(2)
	ds_swizzle_b32 v9, v9 offset:swizzle(SWAP,2)
	;; [unrolled: 2-line block ×3, first 2 shown]
	s_waitcnt lgkmcnt(2)
	scratch_store_b32 v80, v4, off
	s_waitcnt lgkmcnt(1)
	scratch_store_b32 v90, v9, off
	;; [unrolled: 2-line block ×3, first 2 shown]
	s_clause 0x3
	scratch_load_b32 v4, v91, off
	scratch_load_b32 v9, v93, off
	;; [unrolled: 1-line block ×4, first 2 shown]
	s_waitcnt vmcnt(4)
	ds_swizzle_b32 v5, v5 offset:swizzle(SWAP,1)
	s_waitcnt vmcnt(3)
	ds_swizzle_b32 v4, v4 offset:swizzle(SWAP,2)
	s_waitcnt vmcnt(2)
	ds_swizzle_b32 v9, v9 offset:swizzle(SWAP,2)
	s_waitcnt vmcnt(1)
	ds_swizzle_b32 v11, v11 offset:swizzle(SWAP,2)
	s_waitcnt vmcnt(0)
	ds_swizzle_b32 v14, v14 offset:swizzle(SWAP,1)
	s_waitcnt lgkmcnt(3)
	scratch_store_b32 v91, v4, off
	s_waitcnt lgkmcnt(2)
	scratch_store_b32 v93, v9, off
	;; [unrolled: 2-line block ×3, first 2 shown]
	s_clause 0x4
	scratch_load_b32 v4, v95, off
	scratch_load_b32 v9, v105, off
	;; [unrolled: 1-line block ×5, first 2 shown]
	s_waitcnt vmcnt(4)
	ds_swizzle_b32 v4, v4 offset:swizzle(SWAP,2)
	s_waitcnt vmcnt(3)
	ds_swizzle_b32 v9, v9 offset:swizzle(SWAP,1)
	;; [unrolled: 2-line block ×5, first 2 shown]
	s_waitcnt lgkmcnt(4)
	scratch_store_b32 v95, v4, off
	s_clause 0x1
	scratch_load_b32 v4, v109, off
	scratch_load_b32 v20, v110, off
	s_clause 0x1
	scratch_store_b32 v97, v7, off
	scratch_store_b32 v98, v8, off
	scratch_load_b128 v[16:19], off, off offset:16
	s_clause 0x2
	scratch_store_b32 v102, v10, off
	scratch_store_b32 v103, v5, off
	;; [unrolled: 1-line block ×3, first 2 shown]
	s_waitcnt vmcnt(2)
	ds_swizzle_b32 v113, v4 offset:swizzle(SWAP,1)
	s_waitcnt vmcnt(1)
	ds_swizzle_b32 v114, v20 offset:swizzle(SWAP,1)
	scratch_load_b128 v[20:23], off, off offset:64
	scratch_store_b32 v99, v6, off
	s_waitcnt lgkmcnt(5)
	scratch_store_b32 v105, v9, off
	s_waitcnt lgkmcnt(4)
	;; [unrolled: 2-line block ×4, first 2 shown]
	scratch_store_b32 v108, v24, off
	s_clause 0x1
	scratch_load_b128 v[8:11], off, off offset:80
	scratch_load_b128 v[4:7], off, off offset:96
	s_clause 0x1
	scratch_store_b32 v100, v12, off
	scratch_store_b32 v101, v13, off
	s_clause 0x1
	scratch_load_b128 v[28:31], off, off offset:32
	scratch_load_b128 v[24:27], off, off offset:48
	s_waitcnt lgkmcnt(1)
	scratch_store_b32 v109, v113, off
	s_waitcnt lgkmcnt(0)
	scratch_store_b32 v110, v114, off
	scratch_load_b128 v[12:15], off, off offset:112
	; wave barrier
	s_cbranch_scc1 .LBB20_2
	s_branch .LBB20_4
.LBB20_3:
	v_mov_b32_e32 v0, v32
.LBB20_4:
	s_load_b64 s[0:1], s[0:1], 0x0
	v_lshl_or_b32 v32, s15, 13, v32
	v_mov_b32_e32 v33, 0
	s_delay_alu instid0(VALU_DEP_1) | instskip(SKIP_1) | instid1(VALU_DEP_1)
	v_lshlrev_b64 v[32:33], 2, v[32:33]
	s_waitcnt lgkmcnt(0)
	v_add_co_u32 v32, vcc_lo, s0, v32
	s_delay_alu instid0(VALU_DEP_2)
	v_add_co_ci_u32_e32 v33, vcc_lo, s1, v33, vcc_lo
	global_store_b128 v[32:33], v[0:3], off
	s_waitcnt vmcnt(6)
	global_store_b128 v[32:33], v[16:19], off offset:16
	s_waitcnt vmcnt(2)
	global_store_b128 v[32:33], v[28:31], off offset:32
	s_waitcnt vmcnt(1)
	s_clause 0x3
	global_store_b128 v[32:33], v[24:27], off offset:48
	global_store_b128 v[32:33], v[20:23], off offset:64
	;; [unrolled: 1-line block ×4, first 2 shown]
	s_waitcnt vmcnt(0)
	global_store_b128 v[32:33], v[12:15], off offset:112
	s_endpgm
	.section	.rodata,"a",@progbits
	.p2align	6, 0x0
	.amdhsa_kernel _Z20warp_exchange_kernelILj256ELj32ELj32EN6common25BlockedToStripedShuffleOpEiEvPT3_j
		.amdhsa_group_segment_fixed_size 0
		.amdhsa_private_segment_fixed_size 144
		.amdhsa_kernarg_size 12
		.amdhsa_user_sgpr_count 15
		.amdhsa_user_sgpr_dispatch_ptr 0
		.amdhsa_user_sgpr_queue_ptr 0
		.amdhsa_user_sgpr_kernarg_segment_ptr 1
		.amdhsa_user_sgpr_dispatch_id 0
		.amdhsa_user_sgpr_private_segment_size 0
		.amdhsa_wavefront_size32 1
		.amdhsa_uses_dynamic_stack 0
		.amdhsa_enable_private_segment 1
		.amdhsa_system_sgpr_workgroup_id_x 1
		.amdhsa_system_sgpr_workgroup_id_y 0
		.amdhsa_system_sgpr_workgroup_id_z 0
		.amdhsa_system_sgpr_workgroup_info 0
		.amdhsa_system_vgpr_workitem_id 0
		.amdhsa_next_free_vgpr 115
		.amdhsa_next_free_sgpr 16
		.amdhsa_reserve_vcc 1
		.amdhsa_float_round_mode_32 0
		.amdhsa_float_round_mode_16_64 0
		.amdhsa_float_denorm_mode_32 3
		.amdhsa_float_denorm_mode_16_64 3
		.amdhsa_dx10_clamp 1
		.amdhsa_ieee_mode 1
		.amdhsa_fp16_overflow 0
		.amdhsa_workgroup_processor_mode 1
		.amdhsa_memory_ordered 1
		.amdhsa_forward_progress 0
		.amdhsa_shared_vgpr_count 0
		.amdhsa_exception_fp_ieee_invalid_op 0
		.amdhsa_exception_fp_denorm_src 0
		.amdhsa_exception_fp_ieee_div_zero 0
		.amdhsa_exception_fp_ieee_overflow 0
		.amdhsa_exception_fp_ieee_underflow 0
		.amdhsa_exception_fp_ieee_inexact 0
		.amdhsa_exception_int_div_zero 0
	.end_amdhsa_kernel
	.section	.text._Z20warp_exchange_kernelILj256ELj32ELj32EN6common25BlockedToStripedShuffleOpEiEvPT3_j,"axG",@progbits,_Z20warp_exchange_kernelILj256ELj32ELj32EN6common25BlockedToStripedShuffleOpEiEvPT3_j,comdat
.Lfunc_end20:
	.size	_Z20warp_exchange_kernelILj256ELj32ELj32EN6common25BlockedToStripedShuffleOpEiEvPT3_j, .Lfunc_end20-_Z20warp_exchange_kernelILj256ELj32ELj32EN6common25BlockedToStripedShuffleOpEiEvPT3_j
                                        ; -- End function
	.section	.AMDGPU.csdata,"",@progbits
; Kernel info:
; codeLenInByte = 4036
; NumSgprs: 18
; NumVgprs: 115
; ScratchSize: 144
; MemoryBound: 0
; FloatMode: 240
; IeeeMode: 1
; LDSByteSize: 0 bytes/workgroup (compile time only)
; SGPRBlocks: 2
; VGPRBlocks: 14
; NumSGPRsForWavesPerEU: 18
; NumVGPRsForWavesPerEU: 115
; Occupancy: 12
; WaveLimiterHint : 0
; COMPUTE_PGM_RSRC2:SCRATCH_EN: 1
; COMPUTE_PGM_RSRC2:USER_SGPR: 15
; COMPUTE_PGM_RSRC2:TRAP_HANDLER: 0
; COMPUTE_PGM_RSRC2:TGID_X_EN: 1
; COMPUTE_PGM_RSRC2:TGID_Y_EN: 0
; COMPUTE_PGM_RSRC2:TGID_Z_EN: 0
; COMPUTE_PGM_RSRC2:TIDIG_COMP_CNT: 0
	.section	.text._Z20warp_exchange_kernelILj256ELj1ELj16EN6common25StripedToBlockedShuffleOpEiEvPT3_j,"axG",@progbits,_Z20warp_exchange_kernelILj256ELj1ELj16EN6common25StripedToBlockedShuffleOpEiEvPT3_j,comdat
	.protected	_Z20warp_exchange_kernelILj256ELj1ELj16EN6common25StripedToBlockedShuffleOpEiEvPT3_j ; -- Begin function _Z20warp_exchange_kernelILj256ELj1ELj16EN6common25StripedToBlockedShuffleOpEiEvPT3_j
	.globl	_Z20warp_exchange_kernelILj256ELj1ELj16EN6common25StripedToBlockedShuffleOpEiEvPT3_j
	.p2align	8
	.type	_Z20warp_exchange_kernelILj256ELj1ELj16EN6common25StripedToBlockedShuffleOpEiEvPT3_j,@function
_Z20warp_exchange_kernelILj256ELj1ELj16EN6common25StripedToBlockedShuffleOpEiEvPT3_j: ; @_Z20warp_exchange_kernelILj256ELj1ELj16EN6common25StripedToBlockedShuffleOpEiEvPT3_j
; %bb.0:
	s_load_b32 s2, s[0:1], 0x8
	s_waitcnt lgkmcnt(0)
	s_cmp_eq_u32 s2, 0
	s_cbranch_scc1 .LBB21_3
; %bb.1:
	v_mbcnt_lo_u32_b32 v1, -1, 0
	s_delay_alu instid0(VALU_DEP_1)
	v_dual_mov_b32 v1, v0 :: v_dual_lshlrev_b32 v2, 2, v1
.LBB21_2:                               ; =>This Inner Loop Header: Depth=1
	s_waitcnt lgkmcnt(0)
	ds_bpermute_b32 v1, v2, v1
	s_add_i32 s2, s2, -1
	s_delay_alu instid0(SALU_CYCLE_1)
	s_cmp_lg_u32 s2, 0
	; wave barrier
	s_cbranch_scc1 .LBB21_2
	s_branch .LBB21_4
.LBB21_3:
	v_mov_b32_e32 v1, v0
.LBB21_4:
	s_load_b64 s[0:1], s[0:1], 0x0
	v_lshl_or_b32 v2, s15, 8, v0
	v_mov_b32_e32 v3, 0
	s_delay_alu instid0(VALU_DEP_1) | instskip(SKIP_1) | instid1(VALU_DEP_1)
	v_lshlrev_b64 v[2:3], 2, v[2:3]
	s_waitcnt lgkmcnt(0)
	v_add_co_u32 v2, vcc_lo, s0, v2
	s_delay_alu instid0(VALU_DEP_2)
	v_add_co_ci_u32_e32 v3, vcc_lo, s1, v3, vcc_lo
	global_store_b32 v[2:3], v1, off
	s_nop 0
	s_sendmsg sendmsg(MSG_DEALLOC_VGPRS)
	s_endpgm
	.section	.rodata,"a",@progbits
	.p2align	6, 0x0
	.amdhsa_kernel _Z20warp_exchange_kernelILj256ELj1ELj16EN6common25StripedToBlockedShuffleOpEiEvPT3_j
		.amdhsa_group_segment_fixed_size 0
		.amdhsa_private_segment_fixed_size 0
		.amdhsa_kernarg_size 12
		.amdhsa_user_sgpr_count 15
		.amdhsa_user_sgpr_dispatch_ptr 0
		.amdhsa_user_sgpr_queue_ptr 0
		.amdhsa_user_sgpr_kernarg_segment_ptr 1
		.amdhsa_user_sgpr_dispatch_id 0
		.amdhsa_user_sgpr_private_segment_size 0
		.amdhsa_wavefront_size32 1
		.amdhsa_uses_dynamic_stack 0
		.amdhsa_enable_private_segment 0
		.amdhsa_system_sgpr_workgroup_id_x 1
		.amdhsa_system_sgpr_workgroup_id_y 0
		.amdhsa_system_sgpr_workgroup_id_z 0
		.amdhsa_system_sgpr_workgroup_info 0
		.amdhsa_system_vgpr_workitem_id 0
		.amdhsa_next_free_vgpr 4
		.amdhsa_next_free_sgpr 16
		.amdhsa_reserve_vcc 1
		.amdhsa_float_round_mode_32 0
		.amdhsa_float_round_mode_16_64 0
		.amdhsa_float_denorm_mode_32 3
		.amdhsa_float_denorm_mode_16_64 3
		.amdhsa_dx10_clamp 1
		.amdhsa_ieee_mode 1
		.amdhsa_fp16_overflow 0
		.amdhsa_workgroup_processor_mode 1
		.amdhsa_memory_ordered 1
		.amdhsa_forward_progress 0
		.amdhsa_shared_vgpr_count 0
		.amdhsa_exception_fp_ieee_invalid_op 0
		.amdhsa_exception_fp_denorm_src 0
		.amdhsa_exception_fp_ieee_div_zero 0
		.amdhsa_exception_fp_ieee_overflow 0
		.amdhsa_exception_fp_ieee_underflow 0
		.amdhsa_exception_fp_ieee_inexact 0
		.amdhsa_exception_int_div_zero 0
	.end_amdhsa_kernel
	.section	.text._Z20warp_exchange_kernelILj256ELj1ELj16EN6common25StripedToBlockedShuffleOpEiEvPT3_j,"axG",@progbits,_Z20warp_exchange_kernelILj256ELj1ELj16EN6common25StripedToBlockedShuffleOpEiEvPT3_j,comdat
.Lfunc_end21:
	.size	_Z20warp_exchange_kernelILj256ELj1ELj16EN6common25StripedToBlockedShuffleOpEiEvPT3_j, .Lfunc_end21-_Z20warp_exchange_kernelILj256ELj1ELj16EN6common25StripedToBlockedShuffleOpEiEvPT3_j
                                        ; -- End function
	.section	.AMDGPU.csdata,"",@progbits
; Kernel info:
; codeLenInByte = 148
; NumSgprs: 18
; NumVgprs: 4
; ScratchSize: 0
; MemoryBound: 0
; FloatMode: 240
; IeeeMode: 1
; LDSByteSize: 0 bytes/workgroup (compile time only)
; SGPRBlocks: 2
; VGPRBlocks: 0
; NumSGPRsForWavesPerEU: 18
; NumVGPRsForWavesPerEU: 4
; Occupancy: 16
; WaveLimiterHint : 0
; COMPUTE_PGM_RSRC2:SCRATCH_EN: 0
; COMPUTE_PGM_RSRC2:USER_SGPR: 15
; COMPUTE_PGM_RSRC2:TRAP_HANDLER: 0
; COMPUTE_PGM_RSRC2:TGID_X_EN: 1
; COMPUTE_PGM_RSRC2:TGID_Y_EN: 0
; COMPUTE_PGM_RSRC2:TGID_Z_EN: 0
; COMPUTE_PGM_RSRC2:TIDIG_COMP_CNT: 0
	.section	.text._Z20warp_exchange_kernelILj256ELj1ELj32EN6common25StripedToBlockedShuffleOpEiEvPT3_j,"axG",@progbits,_Z20warp_exchange_kernelILj256ELj1ELj32EN6common25StripedToBlockedShuffleOpEiEvPT3_j,comdat
	.protected	_Z20warp_exchange_kernelILj256ELj1ELj32EN6common25StripedToBlockedShuffleOpEiEvPT3_j ; -- Begin function _Z20warp_exchange_kernelILj256ELj1ELj32EN6common25StripedToBlockedShuffleOpEiEvPT3_j
	.globl	_Z20warp_exchange_kernelILj256ELj1ELj32EN6common25StripedToBlockedShuffleOpEiEvPT3_j
	.p2align	8
	.type	_Z20warp_exchange_kernelILj256ELj1ELj32EN6common25StripedToBlockedShuffleOpEiEvPT3_j,@function
_Z20warp_exchange_kernelILj256ELj1ELj32EN6common25StripedToBlockedShuffleOpEiEvPT3_j: ; @_Z20warp_exchange_kernelILj256ELj1ELj32EN6common25StripedToBlockedShuffleOpEiEvPT3_j
; %bb.0:
	s_load_b32 s2, s[0:1], 0x8
	s_waitcnt lgkmcnt(0)
	s_cmp_eq_u32 s2, 0
	s_cbranch_scc1 .LBB22_3
; %bb.1:
	v_mbcnt_lo_u32_b32 v1, -1, 0
	s_delay_alu instid0(VALU_DEP_1)
	v_dual_mov_b32 v1, v0 :: v_dual_lshlrev_b32 v2, 2, v1
.LBB22_2:                               ; =>This Inner Loop Header: Depth=1
	s_waitcnt lgkmcnt(0)
	ds_bpermute_b32 v1, v2, v1
	s_add_i32 s2, s2, -1
	s_delay_alu instid0(SALU_CYCLE_1)
	s_cmp_lg_u32 s2, 0
	; wave barrier
	s_cbranch_scc1 .LBB22_2
	s_branch .LBB22_4
.LBB22_3:
	v_mov_b32_e32 v1, v0
.LBB22_4:
	s_load_b64 s[0:1], s[0:1], 0x0
	v_lshl_or_b32 v2, s15, 8, v0
	v_mov_b32_e32 v3, 0
	s_delay_alu instid0(VALU_DEP_1) | instskip(SKIP_1) | instid1(VALU_DEP_1)
	v_lshlrev_b64 v[2:3], 2, v[2:3]
	s_waitcnt lgkmcnt(0)
	v_add_co_u32 v2, vcc_lo, s0, v2
	s_delay_alu instid0(VALU_DEP_2)
	v_add_co_ci_u32_e32 v3, vcc_lo, s1, v3, vcc_lo
	global_store_b32 v[2:3], v1, off
	s_nop 0
	s_sendmsg sendmsg(MSG_DEALLOC_VGPRS)
	s_endpgm
	.section	.rodata,"a",@progbits
	.p2align	6, 0x0
	.amdhsa_kernel _Z20warp_exchange_kernelILj256ELj1ELj32EN6common25StripedToBlockedShuffleOpEiEvPT3_j
		.amdhsa_group_segment_fixed_size 0
		.amdhsa_private_segment_fixed_size 0
		.amdhsa_kernarg_size 12
		.amdhsa_user_sgpr_count 15
		.amdhsa_user_sgpr_dispatch_ptr 0
		.amdhsa_user_sgpr_queue_ptr 0
		.amdhsa_user_sgpr_kernarg_segment_ptr 1
		.amdhsa_user_sgpr_dispatch_id 0
		.amdhsa_user_sgpr_private_segment_size 0
		.amdhsa_wavefront_size32 1
		.amdhsa_uses_dynamic_stack 0
		.amdhsa_enable_private_segment 0
		.amdhsa_system_sgpr_workgroup_id_x 1
		.amdhsa_system_sgpr_workgroup_id_y 0
		.amdhsa_system_sgpr_workgroup_id_z 0
		.amdhsa_system_sgpr_workgroup_info 0
		.amdhsa_system_vgpr_workitem_id 0
		.amdhsa_next_free_vgpr 4
		.amdhsa_next_free_sgpr 16
		.amdhsa_reserve_vcc 1
		.amdhsa_float_round_mode_32 0
		.amdhsa_float_round_mode_16_64 0
		.amdhsa_float_denorm_mode_32 3
		.amdhsa_float_denorm_mode_16_64 3
		.amdhsa_dx10_clamp 1
		.amdhsa_ieee_mode 1
		.amdhsa_fp16_overflow 0
		.amdhsa_workgroup_processor_mode 1
		.amdhsa_memory_ordered 1
		.amdhsa_forward_progress 0
		.amdhsa_shared_vgpr_count 0
		.amdhsa_exception_fp_ieee_invalid_op 0
		.amdhsa_exception_fp_denorm_src 0
		.amdhsa_exception_fp_ieee_div_zero 0
		.amdhsa_exception_fp_ieee_overflow 0
		.amdhsa_exception_fp_ieee_underflow 0
		.amdhsa_exception_fp_ieee_inexact 0
		.amdhsa_exception_int_div_zero 0
	.end_amdhsa_kernel
	.section	.text._Z20warp_exchange_kernelILj256ELj1ELj32EN6common25StripedToBlockedShuffleOpEiEvPT3_j,"axG",@progbits,_Z20warp_exchange_kernelILj256ELj1ELj32EN6common25StripedToBlockedShuffleOpEiEvPT3_j,comdat
.Lfunc_end22:
	.size	_Z20warp_exchange_kernelILj256ELj1ELj32EN6common25StripedToBlockedShuffleOpEiEvPT3_j, .Lfunc_end22-_Z20warp_exchange_kernelILj256ELj1ELj32EN6common25StripedToBlockedShuffleOpEiEvPT3_j
                                        ; -- End function
	.section	.AMDGPU.csdata,"",@progbits
; Kernel info:
; codeLenInByte = 148
; NumSgprs: 18
; NumVgprs: 4
; ScratchSize: 0
; MemoryBound: 0
; FloatMode: 240
; IeeeMode: 1
; LDSByteSize: 0 bytes/workgroup (compile time only)
; SGPRBlocks: 2
; VGPRBlocks: 0
; NumSGPRsForWavesPerEU: 18
; NumVGPRsForWavesPerEU: 4
; Occupancy: 16
; WaveLimiterHint : 0
; COMPUTE_PGM_RSRC2:SCRATCH_EN: 0
; COMPUTE_PGM_RSRC2:USER_SGPR: 15
; COMPUTE_PGM_RSRC2:TRAP_HANDLER: 0
; COMPUTE_PGM_RSRC2:TGID_X_EN: 1
; COMPUTE_PGM_RSRC2:TGID_Y_EN: 0
; COMPUTE_PGM_RSRC2:TGID_Z_EN: 0
; COMPUTE_PGM_RSRC2:TIDIG_COMP_CNT: 0
	.section	.text._Z20warp_exchange_kernelILj256ELj4ELj16EN6common25StripedToBlockedShuffleOpEiEvPT3_j,"axG",@progbits,_Z20warp_exchange_kernelILj256ELj4ELj16EN6common25StripedToBlockedShuffleOpEiEvPT3_j,comdat
	.protected	_Z20warp_exchange_kernelILj256ELj4ELj16EN6common25StripedToBlockedShuffleOpEiEvPT3_j ; -- Begin function _Z20warp_exchange_kernelILj256ELj4ELj16EN6common25StripedToBlockedShuffleOpEiEvPT3_j
	.globl	_Z20warp_exchange_kernelILj256ELj4ELj16EN6common25StripedToBlockedShuffleOpEiEvPT3_j
	.p2align	8
	.type	_Z20warp_exchange_kernelILj256ELj4ELj16EN6common25StripedToBlockedShuffleOpEiEvPT3_j,@function
_Z20warp_exchange_kernelILj256ELj4ELj16EN6common25StripedToBlockedShuffleOpEiEvPT3_j: ; @_Z20warp_exchange_kernelILj256ELj4ELj16EN6common25StripedToBlockedShuffleOpEiEvPT3_j
; %bb.0:
	s_load_b32 s29, s[0:1], 0x8
	v_lshlrev_b32_e32 v4, 2, v0
	s_delay_alu instid0(VALU_DEP_1)
	v_or_b32_e32 v1, 1, v4
	v_or_b32_e32 v2, 2, v4
	;; [unrolled: 1-line block ×3, first 2 shown]
	s_waitcnt lgkmcnt(0)
	s_cmp_eq_u32 s29, 0
	s_cbranch_scc1 .LBB23_3
; %bb.1:
	v_mbcnt_lo_u32_b32 v0, -1, 0
	s_delay_alu instid0(VALU_DEP_1)
	v_and_b32_e32 v6, 16, v0
	v_add_nc_u32_e32 v5, 12, v0
	v_lshlrev_b32_e32 v7, 2, v0
	v_add_nc_u32_e32 v8, 4, v0
	v_bfe_u32 v9, v0, 2, 2
	v_lshrrev_b32_e32 v10, 2, v0
	v_and_b32_e32 v11, 3, v0
	v_add_nc_u32_e32 v0, -1, v0
	s_delay_alu instid0(VALU_DEP_4) | instskip(SKIP_1) | instid1(VALU_DEP_4)
	v_xor_b32_e32 v13, 2, v9
	v_cmp_eq_u32_e32 vcc_lo, 1, v9
	v_xor_b32_e32 v11, 2, v11
	s_delay_alu instid0(VALU_DEP_4)
	v_and_b32_e32 v0, 3, v0
	v_cmp_eq_u32_e64 s2, 2, v9
	v_cmp_eq_u32_e64 s3, 3, v9
	;; [unrolled: 1-line block ×8, first 2 shown]
	v_mov_b32_e32 v0, v4
	v_and_or_b32 v12, v5, 15, v6
	v_xor_b32_e32 v5, 32, v7
	v_and_or_b32 v7, v8, 15, v6
	v_add_nc_u32_e32 v8, -1, v10
	v_add_nc_u32_e32 v10, -1, v13
	v_lshlrev_b32_e32 v6, 2, v12
	v_add_nc_u32_e32 v12, -1, v11
	v_lshlrev_b32_e32 v7, 2, v7
	v_and_b32_e32 v8, 3, v8
	v_and_b32_e32 v10, 3, v10
	v_cmp_eq_u32_e64 s10, 3, v13
	v_and_b32_e32 v12, 3, v12
	v_cmp_eq_u32_e64 s11, 0, v13
	v_cmp_eq_u32_e64 s4, 3, v8
	;; [unrolled: 1-line block ×17, first 2 shown]
.LBB23_2:                               ; =>This Inner Loop Header: Depth=1
	ds_bpermute_b32 v8, v6, v1
	ds_bpermute_b32 v9, v5, v2
	;; [unrolled: 1-line block ×3, first 2 shown]
	v_cndmask_b32_e32 v1, v1, v0, vcc_lo
	v_cndmask_b32_e64 v2, v2, v0, s2
	v_cndmask_b32_e64 v3, v3, v0, s3
	s_add_i32 s29, s29, -1
	s_delay_alu instid0(SALU_CYCLE_1)
	s_cmp_lg_u32 s29, 0
	; wave barrier
	s_waitcnt lgkmcnt(2)
	v_cndmask_b32_e64 v1, v1, v8, s6
	v_cndmask_b32_e64 v2, v2, v8, s5
	v_cndmask_b32_e64 v3, v3, v8, s4
	v_cndmask_b32_e64 v0, v0, v8, s7
	s_waitcnt lgkmcnt(1)
	v_cndmask_b32_e64 v1, v1, v9, s8
	v_cndmask_b32_e64 v2, v2, v9, s9
	v_cndmask_b32_e64 v3, v3, v9, s10
	v_cndmask_b32_e64 v0, v0, v9, s11
	s_waitcnt lgkmcnt(0)
	v_cndmask_b32_e64 v1, v1, v10, s14
	v_cndmask_b32_e64 v2, v2, v10, s13
	v_cndmask_b32_e64 v3, v3, v10, s12
	v_cndmask_b32_e64 v0, v0, v10, s16
	ds_bpermute_b32 v1, v7, v1
	ds_bpermute_b32 v2, v5, v2
	;; [unrolled: 1-line block ×3, first 2 shown]
	s_waitcnt lgkmcnt(2)
	v_mov_b32_dpp v1, v1 quad_perm:[3,0,1,2] row_mask:0xf bank_mask:0xf
	s_waitcnt lgkmcnt(1)
	v_mov_b32_dpp v2, v2 quad_perm:[2,3,0,1] row_mask:0xf bank_mask:0xf
	;; [unrolled: 2-line block ×3, first 2 shown]
	v_cndmask_b32_e64 v8, v0, v1, s20
	v_cndmask_b32_e64 v9, v0, v1, s19
	;; [unrolled: 1-line block ×4, first 2 shown]
	s_delay_alu instid0(VALU_DEP_4) | instskip(NEXT) | instid1(VALU_DEP_4)
	v_cndmask_b32_e64 v1, v8, v2, s21
	v_cndmask_b32_e64 v8, v9, v2, s22
	s_delay_alu instid0(VALU_DEP_4) | instskip(NEXT) | instid1(VALU_DEP_4)
	v_cndmask_b32_e64 v9, v10, v2, s23
	v_cndmask_b32_e64 v0, v0, v2, s24
	;; [unrolled: 3-line block ×4, first 2 shown]
	s_delay_alu instid0(VALU_DEP_4) | instskip(NEXT) | instid1(VALU_DEP_4)
	v_mov_b32_dpp v1, v1 quad_perm:[1,2,3,0] row_mask:0xf bank_mask:0xf
	v_mov_b32_dpp v2, v2 quad_perm:[2,3,0,1] row_mask:0xf bank_mask:0xf
	s_delay_alu instid0(VALU_DEP_4)
	v_mov_b32_dpp v3, v8 quad_perm:[3,0,1,2] row_mask:0xf bank_mask:0xf
	s_cbranch_scc1 .LBB23_2
	s_branch .LBB23_4
.LBB23_3:
	v_mov_b32_e32 v0, v4
.LBB23_4:
	s_load_b64 s[0:1], s[0:1], 0x0
	v_lshl_or_b32 v4, s15, 10, v4
	v_mov_b32_e32 v5, 0
	s_delay_alu instid0(VALU_DEP_1) | instskip(SKIP_1) | instid1(VALU_DEP_1)
	v_lshlrev_b64 v[4:5], 2, v[4:5]
	s_waitcnt lgkmcnt(0)
	v_add_co_u32 v4, vcc_lo, s0, v4
	s_delay_alu instid0(VALU_DEP_2)
	v_add_co_ci_u32_e32 v5, vcc_lo, s1, v5, vcc_lo
	global_store_b128 v[4:5], v[0:3], off
	s_nop 0
	s_sendmsg sendmsg(MSG_DEALLOC_VGPRS)
	s_endpgm
	.section	.rodata,"a",@progbits
	.p2align	6, 0x0
	.amdhsa_kernel _Z20warp_exchange_kernelILj256ELj4ELj16EN6common25StripedToBlockedShuffleOpEiEvPT3_j
		.amdhsa_group_segment_fixed_size 0
		.amdhsa_private_segment_fixed_size 0
		.amdhsa_kernarg_size 12
		.amdhsa_user_sgpr_count 15
		.amdhsa_user_sgpr_dispatch_ptr 0
		.amdhsa_user_sgpr_queue_ptr 0
		.amdhsa_user_sgpr_kernarg_segment_ptr 1
		.amdhsa_user_sgpr_dispatch_id 0
		.amdhsa_user_sgpr_private_segment_size 0
		.amdhsa_wavefront_size32 1
		.amdhsa_uses_dynamic_stack 0
		.amdhsa_enable_private_segment 0
		.amdhsa_system_sgpr_workgroup_id_x 1
		.amdhsa_system_sgpr_workgroup_id_y 0
		.amdhsa_system_sgpr_workgroup_id_z 0
		.amdhsa_system_sgpr_workgroup_info 0
		.amdhsa_system_vgpr_workitem_id 0
		.amdhsa_next_free_vgpr 14
		.amdhsa_next_free_sgpr 30
		.amdhsa_reserve_vcc 1
		.amdhsa_float_round_mode_32 0
		.amdhsa_float_round_mode_16_64 0
		.amdhsa_float_denorm_mode_32 3
		.amdhsa_float_denorm_mode_16_64 3
		.amdhsa_dx10_clamp 1
		.amdhsa_ieee_mode 1
		.amdhsa_fp16_overflow 0
		.amdhsa_workgroup_processor_mode 1
		.amdhsa_memory_ordered 1
		.amdhsa_forward_progress 0
		.amdhsa_shared_vgpr_count 0
		.amdhsa_exception_fp_ieee_invalid_op 0
		.amdhsa_exception_fp_denorm_src 0
		.amdhsa_exception_fp_ieee_div_zero 0
		.amdhsa_exception_fp_ieee_overflow 0
		.amdhsa_exception_fp_ieee_underflow 0
		.amdhsa_exception_fp_ieee_inexact 0
		.amdhsa_exception_int_div_zero 0
	.end_amdhsa_kernel
	.section	.text._Z20warp_exchange_kernelILj256ELj4ELj16EN6common25StripedToBlockedShuffleOpEiEvPT3_j,"axG",@progbits,_Z20warp_exchange_kernelILj256ELj4ELj16EN6common25StripedToBlockedShuffleOpEiEvPT3_j,comdat
.Lfunc_end23:
	.size	_Z20warp_exchange_kernelILj256ELj4ELj16EN6common25StripedToBlockedShuffleOpEiEvPT3_j, .Lfunc_end23-_Z20warp_exchange_kernelILj256ELj4ELj16EN6common25StripedToBlockedShuffleOpEiEvPT3_j
                                        ; -- End function
	.section	.AMDGPU.csdata,"",@progbits
; Kernel info:
; codeLenInByte = 828
; NumSgprs: 32
; NumVgprs: 14
; ScratchSize: 0
; MemoryBound: 0
; FloatMode: 240
; IeeeMode: 1
; LDSByteSize: 0 bytes/workgroup (compile time only)
; SGPRBlocks: 3
; VGPRBlocks: 1
; NumSGPRsForWavesPerEU: 32
; NumVGPRsForWavesPerEU: 14
; Occupancy: 16
; WaveLimiterHint : 0
; COMPUTE_PGM_RSRC2:SCRATCH_EN: 0
; COMPUTE_PGM_RSRC2:USER_SGPR: 15
; COMPUTE_PGM_RSRC2:TRAP_HANDLER: 0
; COMPUTE_PGM_RSRC2:TGID_X_EN: 1
; COMPUTE_PGM_RSRC2:TGID_Y_EN: 0
; COMPUTE_PGM_RSRC2:TGID_Z_EN: 0
; COMPUTE_PGM_RSRC2:TIDIG_COMP_CNT: 0
	.section	.text._Z20warp_exchange_kernelILj256ELj4ELj32EN6common25StripedToBlockedShuffleOpEiEvPT3_j,"axG",@progbits,_Z20warp_exchange_kernelILj256ELj4ELj32EN6common25StripedToBlockedShuffleOpEiEvPT3_j,comdat
	.protected	_Z20warp_exchange_kernelILj256ELj4ELj32EN6common25StripedToBlockedShuffleOpEiEvPT3_j ; -- Begin function _Z20warp_exchange_kernelILj256ELj4ELj32EN6common25StripedToBlockedShuffleOpEiEvPT3_j
	.globl	_Z20warp_exchange_kernelILj256ELj4ELj32EN6common25StripedToBlockedShuffleOpEiEvPT3_j
	.p2align	8
	.type	_Z20warp_exchange_kernelILj256ELj4ELj32EN6common25StripedToBlockedShuffleOpEiEvPT3_j,@function
_Z20warp_exchange_kernelILj256ELj4ELj32EN6common25StripedToBlockedShuffleOpEiEvPT3_j: ; @_Z20warp_exchange_kernelILj256ELj4ELj32EN6common25StripedToBlockedShuffleOpEiEvPT3_j
; %bb.0:
	s_load_b32 s4, s[0:1], 0x8
	v_lshlrev_b32_e32 v4, 2, v0
	s_delay_alu instid0(VALU_DEP_1)
	v_or_b32_e32 v1, 1, v4
	v_or_b32_e32 v2, 2, v4
	;; [unrolled: 1-line block ×3, first 2 shown]
	s_waitcnt lgkmcnt(0)
	s_cmp_eq_u32 s4, 0
	s_cbranch_scc1 .LBB24_3
; %bb.1:
	v_mbcnt_lo_u32_b32 v0, -1, 0
	s_delay_alu instid0(VALU_DEP_1) | instskip(SKIP_1) | instid1(VALU_DEP_1)
	v_lshlrev_b32_e32 v5, 4, v0
	v_lshrrev_b32_e32 v0, 3, v0
	v_cmp_eq_u32_e32 vcc_lo, 3, v0
	v_cmp_eq_u32_e64 s2, 2, v0
	v_cmp_eq_u32_e64 s3, 1, v0
	v_dual_mov_b32 v0, v4 :: v_dual_and_b32 v5, 0x70, v5
	s_delay_alu instid0(VALU_DEP_1)
	v_or_b32_e32 v6, 4, v5
	v_or_b32_e32 v7, 8, v5
	;; [unrolled: 1-line block ×3, first 2 shown]
.LBB24_2:                               ; =>This Inner Loop Header: Depth=1
	ds_bpermute_b32 v9, v5, v0
	ds_bpermute_b32 v10, v5, v1
	;; [unrolled: 1-line block ×16, first 2 shown]
	s_add_i32 s4, s4, -1
	s_delay_alu instid0(SALU_CYCLE_1)
	s_cmp_lg_u32 s4, 0
	; wave barrier
	s_waitcnt lgkmcnt(14)
	v_cndmask_b32_e64 v9, v9, v10, s3
	s_waitcnt lgkmcnt(12)
	v_cndmask_b32_e64 v10, v11, v12, s3
	;; [unrolled: 2-line block ×8, first 2 shown]
	s_waitcnt lgkmcnt(3)
	v_cndmask_b32_e32 v0, v1, v18, vcc_lo
	s_waitcnt lgkmcnt(1)
	v_dual_cndmask_b32 v1, v9, v19 :: v_dual_cndmask_b32 v2, v10, v20
	s_waitcnt lgkmcnt(0)
	v_cndmask_b32_e32 v3, v11, v3, vcc_lo
	s_cbranch_scc1 .LBB24_2
	s_branch .LBB24_4
.LBB24_3:
	v_mov_b32_e32 v0, v4
.LBB24_4:
	s_load_b64 s[0:1], s[0:1], 0x0
	v_lshl_or_b32 v4, s15, 10, v4
	v_mov_b32_e32 v5, 0
	s_delay_alu instid0(VALU_DEP_1) | instskip(SKIP_1) | instid1(VALU_DEP_1)
	v_lshlrev_b64 v[4:5], 2, v[4:5]
	s_waitcnt lgkmcnt(0)
	v_add_co_u32 v4, vcc_lo, s0, v4
	s_delay_alu instid0(VALU_DEP_2)
	v_add_co_ci_u32_e32 v5, vcc_lo, s1, v5, vcc_lo
	global_store_b128 v[4:5], v[0:3], off
	s_nop 0
	s_sendmsg sendmsg(MSG_DEALLOC_VGPRS)
	s_endpgm
	.section	.rodata,"a",@progbits
	.p2align	6, 0x0
	.amdhsa_kernel _Z20warp_exchange_kernelILj256ELj4ELj32EN6common25StripedToBlockedShuffleOpEiEvPT3_j
		.amdhsa_group_segment_fixed_size 0
		.amdhsa_private_segment_fixed_size 0
		.amdhsa_kernarg_size 12
		.amdhsa_user_sgpr_count 15
		.amdhsa_user_sgpr_dispatch_ptr 0
		.amdhsa_user_sgpr_queue_ptr 0
		.amdhsa_user_sgpr_kernarg_segment_ptr 1
		.amdhsa_user_sgpr_dispatch_id 0
		.amdhsa_user_sgpr_private_segment_size 0
		.amdhsa_wavefront_size32 1
		.amdhsa_uses_dynamic_stack 0
		.amdhsa_enable_private_segment 0
		.amdhsa_system_sgpr_workgroup_id_x 1
		.amdhsa_system_sgpr_workgroup_id_y 0
		.amdhsa_system_sgpr_workgroup_id_z 0
		.amdhsa_system_sgpr_workgroup_info 0
		.amdhsa_system_vgpr_workitem_id 0
		.amdhsa_next_free_vgpr 21
		.amdhsa_next_free_sgpr 16
		.amdhsa_reserve_vcc 1
		.amdhsa_float_round_mode_32 0
		.amdhsa_float_round_mode_16_64 0
		.amdhsa_float_denorm_mode_32 3
		.amdhsa_float_denorm_mode_16_64 3
		.amdhsa_dx10_clamp 1
		.amdhsa_ieee_mode 1
		.amdhsa_fp16_overflow 0
		.amdhsa_workgroup_processor_mode 1
		.amdhsa_memory_ordered 1
		.amdhsa_forward_progress 0
		.amdhsa_shared_vgpr_count 0
		.amdhsa_exception_fp_ieee_invalid_op 0
		.amdhsa_exception_fp_denorm_src 0
		.amdhsa_exception_fp_ieee_div_zero 0
		.amdhsa_exception_fp_ieee_overflow 0
		.amdhsa_exception_fp_ieee_underflow 0
		.amdhsa_exception_fp_ieee_inexact 0
		.amdhsa_exception_int_div_zero 0
	.end_amdhsa_kernel
	.section	.text._Z20warp_exchange_kernelILj256ELj4ELj32EN6common25StripedToBlockedShuffleOpEiEvPT3_j,"axG",@progbits,_Z20warp_exchange_kernelILj256ELj4ELj32EN6common25StripedToBlockedShuffleOpEiEvPT3_j,comdat
.Lfunc_end24:
	.size	_Z20warp_exchange_kernelILj256ELj4ELj32EN6common25StripedToBlockedShuffleOpEiEvPT3_j, .Lfunc_end24-_Z20warp_exchange_kernelILj256ELj4ELj32EN6common25StripedToBlockedShuffleOpEiEvPT3_j
                                        ; -- End function
	.section	.AMDGPU.csdata,"",@progbits
; Kernel info:
; codeLenInByte = 456
; NumSgprs: 18
; NumVgprs: 21
; ScratchSize: 0
; MemoryBound: 0
; FloatMode: 240
; IeeeMode: 1
; LDSByteSize: 0 bytes/workgroup (compile time only)
; SGPRBlocks: 2
; VGPRBlocks: 2
; NumSGPRsForWavesPerEU: 18
; NumVGPRsForWavesPerEU: 21
; Occupancy: 16
; WaveLimiterHint : 0
; COMPUTE_PGM_RSRC2:SCRATCH_EN: 0
; COMPUTE_PGM_RSRC2:USER_SGPR: 15
; COMPUTE_PGM_RSRC2:TRAP_HANDLER: 0
; COMPUTE_PGM_RSRC2:TGID_X_EN: 1
; COMPUTE_PGM_RSRC2:TGID_Y_EN: 0
; COMPUTE_PGM_RSRC2:TGID_Z_EN: 0
; COMPUTE_PGM_RSRC2:TIDIG_COMP_CNT: 0
	.section	.text._Z20warp_exchange_kernelILj256ELj16ELj16EN6common25StripedToBlockedShuffleOpEiEvPT3_j,"axG",@progbits,_Z20warp_exchange_kernelILj256ELj16ELj16EN6common25StripedToBlockedShuffleOpEiEvPT3_j,comdat
	.protected	_Z20warp_exchange_kernelILj256ELj16ELj16EN6common25StripedToBlockedShuffleOpEiEvPT3_j ; -- Begin function _Z20warp_exchange_kernelILj256ELj16ELj16EN6common25StripedToBlockedShuffleOpEiEvPT3_j
	.globl	_Z20warp_exchange_kernelILj256ELj16ELj16EN6common25StripedToBlockedShuffleOpEiEvPT3_j
	.p2align	8
	.type	_Z20warp_exchange_kernelILj256ELj16ELj16EN6common25StripedToBlockedShuffleOpEiEvPT3_j,@function
_Z20warp_exchange_kernelILj256ELj16ELj16EN6common25StripedToBlockedShuffleOpEiEvPT3_j: ; @_Z20warp_exchange_kernelILj256ELj16ELj16EN6common25StripedToBlockedShuffleOpEiEvPT3_j
; %bb.0:
	s_load_b32 s4, s[2:3], 0x8
	v_and_b32_e32 v9, 0x3ff, v0
	s_delay_alu instid0(VALU_DEP_1) | instskip(NEXT) | instid1(VALU_DEP_1)
	v_lshlrev_b32_e32 v17, 4, v9
	v_or_b32_e32 v10, 1, v17
	v_or_b32_e32 v11, 2, v17
	v_or_b32_e32 v12, 3, v17
	v_or_b32_e32 v13, 4, v17
	v_or_b32_e32 v14, 5, v17
	v_or_b32_e32 v15, 6, v17
	v_or_b32_e32 v16, 7, v17
	v_or_b32_e32 v5, 8, v17
	v_or_b32_e32 v6, 9, v17
	v_or_b32_e32 v7, 10, v17
	v_or_b32_e32 v8, 11, v17
	v_or_b32_e32 v1, 12, v17
	v_or_b32_e32 v2, 13, v17
	v_or_b32_e32 v3, 14, v17
	v_or_b32_e32 v4, 15, v17
	s_waitcnt lgkmcnt(0)
	s_cmp_eq_u32 s4, 0
	s_cbranch_scc1 .LBB25_3
; %bb.1:
	s_load_b64 s[6:7], s[0:1], 0x4
	v_mbcnt_lo_u32_b32 v18, -1, 0
	v_bfe_u32 v19, v0, 10, 10
	v_bfe_u32 v0, v0, 20, 10
	s_delay_alu instid0(VALU_DEP_3) | instskip(SKIP_3) | instid1(VALU_DEP_4)
	v_and_b32_e32 v20, 8, v18
	v_and_b32_e32 v21, 4, v18
	;; [unrolled: 1-line block ×4, first 2 shown]
	v_lshlrev_b32_e32 v23, 2, v20
	v_cmp_eq_u32_e32 vcc_lo, 0, v20
	v_lshlrev_b32_e32 v24, 2, v21
	v_cmp_eq_u32_e64 s0, 0, v21
	v_lshlrev_b32_e32 v21, 2, v22
	v_cmp_eq_u32_e64 s1, 0, v22
	v_cndmask_b32_e64 v20, 4, 36, vcc_lo
	v_xor_b32_e32 v22, 32, v23
	v_cndmask_b32_e64 v23, 8, 40, vcc_lo
	s_waitcnt lgkmcnt(0)
	s_lshr_b32 s5, s6, 16
	v_cndmask_b32_e64 v25, 12, 44, vcc_lo
	s_mul_i32 s5, s5, s7
	v_cndmask_b32_e64 v26, 16, 48, vcc_lo
	v_mul_lo_u32 v9, s5, v9
	v_cndmask_b32_e64 v28, 20, 52, vcc_lo
	v_cndmask_b32_e64 v29, 24, 56, vcc_lo
	v_cndmask_b32_e64 v30, 28, 60, vcc_lo
	v_cmp_eq_u32_e32 vcc_lo, 0, v18
	v_cndmask_b32_e64 v27, 4, 20, s0
	v_cndmask_b32_e64 v35, 4, 12, s1
	v_xor_b32_e32 v31, 16, v24
	v_mad_u32_u24 v9, v19, s7, v9
	v_lshlrev_b32_e32 v19, 2, v18
	v_cndmask_b32_e64 v32, 8, 24, s0
	v_cndmask_b32_e64 v33, 12, 28, s0
	;; [unrolled: 1-line block ×6, first 2 shown]
	v_xor_b32_e32 v39, 8, v21
	v_cndmask_b32_e64 v40, 16, 24, s1
	v_add_lshl_u32 v0, v9, v0, 6
	v_cndmask_b32_e64 v9, 20, 28, s1
	v_cndmask_b32_e64 v41, 32, 40, s1
	;; [unrolled: 1-line block ×5, first 2 shown]
	v_xor_b32_e32 v45, 4, v19
	v_cndmask_b32_e64 v46, 8, 12, vcc_lo
	v_cndmask_b32_e64 v47, 16, 20, vcc_lo
	;; [unrolled: 1-line block ×7, first 2 shown]
	v_add_nc_u32_e32 v18, v0, v22
	v_add_nc_u32_e32 v19, v0, v20
	;; [unrolled: 1-line block ×20, first 2 shown]
	v_dual_mov_b32 v9, v17 :: v_dual_add_nc_u32 v38, v0, v41
	v_add_nc_u32_e32 v39, v0, v42
	v_add_nc_u32_e32 v40, v0, v43
	;; [unrolled: 1-line block ×11, first 2 shown]
.LBB25_2:                               ; =>This Inner Loop Header: Depth=1
	ds_store_b128 v0, v[9:12]
	s_waitcnt lgkmcnt(4)
	ds_store_b128 v0, v[13:16] offset:16
	ds_store_b128 v0, v[5:8] offset:32
	ds_load_b32 v5, v18
	s_add_i32 s4, s4, -1
	s_delay_alu instid0(SALU_CYCLE_1)
	s_cmp_lg_u32 s4, 0
	s_waitcnt lgkmcnt(0)
	ds_swizzle_b32 v5, v5 offset:swizzle(SWAP,8)
	s_waitcnt lgkmcnt(0)
	ds_store_b32 v18, v5
	ds_load_b32 v5, v19
	s_waitcnt lgkmcnt(0)
	ds_swizzle_b32 v5, v5 offset:swizzle(SWAP,8)
	s_waitcnt lgkmcnt(0)
	ds_store_b32 v19, v5
	ds_load_b32 v5, v20
	;; [unrolled: 5-line block ×3, first 2 shown]
	s_waitcnt lgkmcnt(0)
	ds_swizzle_b32 v5, v5 offset:swizzle(SWAP,8)
	ds_store_b128 v0, v[1:4] offset:48
	s_waitcnt lgkmcnt(1)
	ds_store_b32 v21, v5
	ds_load_b32 v1, v22
	s_waitcnt lgkmcnt(0)
	ds_swizzle_b32 v1, v1 offset:swizzle(SWAP,8)
	s_waitcnt lgkmcnt(0)
	ds_store_b32 v22, v1
	ds_load_b32 v1, v23
	ds_load_b32 v2, v26
	s_waitcnt lgkmcnt(1)
	ds_swizzle_b32 v1, v1 offset:swizzle(SWAP,8)
	s_waitcnt lgkmcnt(1)
	ds_swizzle_b32 v2, v2 offset:swizzle(SWAP,4)
	s_waitcnt lgkmcnt(1)
	ds_store_b32 v23, v1
	s_waitcnt lgkmcnt(1)
	ds_store_b32 v26, v2
	ds_load_b32 v1, v24
	ds_load_b32 v2, v27
	s_waitcnt lgkmcnt(1)
	ds_swizzle_b32 v1, v1 offset:swizzle(SWAP,8)
	s_waitcnt lgkmcnt(1)
	ds_swizzle_b32 v2, v2 offset:swizzle(SWAP,4)
	s_waitcnt lgkmcnt(1)
	ds_store_b32 v24, v1
	;; [unrolled: 10-line block ×3, first 2 shown]
	s_waitcnt lgkmcnt(1)
	ds_store_b32 v28, v2
	ds_load_b32 v1, v29
	ds_load_b32 v2, v30
	;; [unrolled: 1-line block ×3, first 2 shown]
	s_waitcnt lgkmcnt(2)
	ds_swizzle_b32 v1, v1 offset:swizzle(SWAP,4)
	s_waitcnt lgkmcnt(2)
	ds_swizzle_b32 v2, v2 offset:swizzle(SWAP,4)
	s_waitcnt lgkmcnt(2)
	ds_swizzle_b32 v3, v3 offset:swizzle(SWAP,2)
	s_waitcnt lgkmcnt(2)
	ds_store_b32 v29, v1
	s_waitcnt lgkmcnt(2)
	ds_store_b32 v30, v2
	ds_load_b32 v1, v31
	s_waitcnt lgkmcnt(3)
	ds_store_b32 v34, v3
	ds_load_b32 v2, v35
	s_waitcnt lgkmcnt(2)
	ds_swizzle_b32 v1, v1 offset:swizzle(SWAP,4)
	s_waitcnt lgkmcnt(1)
	ds_swizzle_b32 v2, v2 offset:swizzle(SWAP,2)
	s_waitcnt lgkmcnt(1)
	ds_store_b32 v31, v1
	ds_load_b32 v1, v32
	ds_load_b32 v3, v36
	s_waitcnt lgkmcnt(3)
	ds_store_b32 v35, v2
	ds_load_b32 v2, v42
	s_waitcnt lgkmcnt(3)
	ds_swizzle_b32 v1, v1 offset:swizzle(SWAP,4)
	s_waitcnt lgkmcnt(3)
	ds_swizzle_b32 v3, v3 offset:swizzle(SWAP,2)
	s_waitcnt lgkmcnt(1)
	ds_store_b32 v32, v1
	s_waitcnt lgkmcnt(1)
	ds_store_b32 v36, v3
	ds_load_b32 v1, v33
	ds_load_b32 v3, v37
	;; [unrolled: 1-line block ×4, first 2 shown]
	ds_swizzle_b32 v2, v2 offset:swizzle(SWAP,1)
	s_waitcnt lgkmcnt(4)
	ds_swizzle_b32 v1, v1 offset:swizzle(SWAP,4)
	s_waitcnt lgkmcnt(4)
	;; [unrolled: 2-line block ×5, first 2 shown]
	ds_store_b32 v33, v1
	s_waitcnt lgkmcnt(3)
	ds_store_b32 v37, v3
	s_waitcnt lgkmcnt(3)
	ds_store_b32 v38, v4
	ds_load_b32 v1, v39
	ds_load_b32 v3, v40
	;; [unrolled: 1-line block ×3, first 2 shown]
	s_waitcnt lgkmcnt(2)
	ds_swizzle_b32 v1, v1 offset:swizzle(SWAP,2)
	s_waitcnt lgkmcnt(2)
	ds_swizzle_b32 v3, v3 offset:swizzle(SWAP,2)
	;; [unrolled: 2-line block ×3, first 2 shown]
	s_waitcnt lgkmcnt(2)
	ds_store_b32 v39, v1
	s_waitcnt lgkmcnt(2)
	ds_store_b32 v40, v3
	ds_load_b32 v1, v41
	ds_load_b32 v3, v45
	;; [unrolled: 1-line block ×4, first 2 shown]
	s_waitcnt lgkmcnt(3)
	ds_swizzle_b32 v1, v1 offset:swizzle(SWAP,2)
	s_waitcnt lgkmcnt(3)
	ds_swizzle_b32 v3, v3 offset:swizzle(SWAP,1)
	;; [unrolled: 2-line block ×4, first 2 shown]
	s_waitcnt lgkmcnt(3)
	ds_store_b32 v41, v1
	ds_load_b32 v1, v48
	ds_load_b32 v8, v49
	ds_store_b32 v43, v5
	ds_store_b32 v42, v2
	ds_load_b128 v[9:12], v0
	s_waitcnt lgkmcnt(7)
	ds_store_b32 v46, v6
	s_waitcnt lgkmcnt(7)
	ds_store_b32 v47, v7
	s_waitcnt lgkmcnt(6)
	ds_swizzle_b32 v1, v1 offset:swizzle(SWAP,1)
	s_waitcnt lgkmcnt(6)
	ds_swizzle_b32 v50, v8 offset:swizzle(SWAP,1)
	ds_load_b128 v[5:8], v0 offset:32
	ds_store_b32 v44, v4
	ds_store_b32 v45, v3
	ds_load_b128 v[13:16], v0 offset:16
	s_waitcnt lgkmcnt(5)
	ds_store_b32 v48, v1
	s_waitcnt lgkmcnt(5)
	ds_store_b32 v49, v50
	ds_load_b128 v[1:4], v0 offset:48
	; wave barrier
	s_cbranch_scc1 .LBB25_2
	s_branch .LBB25_4
.LBB25_3:
	v_mov_b32_e32 v9, v17
.LBB25_4:
	s_load_b64 s[0:1], s[2:3], 0x0
	v_lshl_or_b32 v17, s15, 12, v17
	v_mov_b32_e32 v18, 0
	s_delay_alu instid0(VALU_DEP_1) | instskip(SKIP_1) | instid1(VALU_DEP_1)
	v_lshlrev_b64 v[17:18], 2, v[17:18]
	s_waitcnt lgkmcnt(0)
	v_add_co_u32 v17, vcc_lo, s0, v17
	s_delay_alu instid0(VALU_DEP_2)
	v_add_co_ci_u32_e32 v18, vcc_lo, s1, v18, vcc_lo
	s_clause 0x3
	global_store_b128 v[17:18], v[9:12], off
	global_store_b128 v[17:18], v[13:16], off offset:16
	global_store_b128 v[17:18], v[5:8], off offset:32
	;; [unrolled: 1-line block ×3, first 2 shown]
	s_nop 0
	s_sendmsg sendmsg(MSG_DEALLOC_VGPRS)
	s_endpgm
	.section	.rodata,"a",@progbits
	.p2align	6, 0x0
	.amdhsa_kernel _Z20warp_exchange_kernelILj256ELj16ELj16EN6common25StripedToBlockedShuffleOpEiEvPT3_j
		.amdhsa_group_segment_fixed_size 16384
		.amdhsa_private_segment_fixed_size 0
		.amdhsa_kernarg_size 12
		.amdhsa_user_sgpr_count 15
		.amdhsa_user_sgpr_dispatch_ptr 1
		.amdhsa_user_sgpr_queue_ptr 0
		.amdhsa_user_sgpr_kernarg_segment_ptr 1
		.amdhsa_user_sgpr_dispatch_id 0
		.amdhsa_user_sgpr_private_segment_size 0
		.amdhsa_wavefront_size32 1
		.amdhsa_uses_dynamic_stack 0
		.amdhsa_enable_private_segment 0
		.amdhsa_system_sgpr_workgroup_id_x 1
		.amdhsa_system_sgpr_workgroup_id_y 0
		.amdhsa_system_sgpr_workgroup_id_z 0
		.amdhsa_system_sgpr_workgroup_info 0
		.amdhsa_system_vgpr_workitem_id 2
		.amdhsa_next_free_vgpr 53
		.amdhsa_next_free_sgpr 16
		.amdhsa_reserve_vcc 1
		.amdhsa_float_round_mode_32 0
		.amdhsa_float_round_mode_16_64 0
		.amdhsa_float_denorm_mode_32 3
		.amdhsa_float_denorm_mode_16_64 3
		.amdhsa_dx10_clamp 1
		.amdhsa_ieee_mode 1
		.amdhsa_fp16_overflow 0
		.amdhsa_workgroup_processor_mode 1
		.amdhsa_memory_ordered 1
		.amdhsa_forward_progress 0
		.amdhsa_shared_vgpr_count 0
		.amdhsa_exception_fp_ieee_invalid_op 0
		.amdhsa_exception_fp_denorm_src 0
		.amdhsa_exception_fp_ieee_div_zero 0
		.amdhsa_exception_fp_ieee_overflow 0
		.amdhsa_exception_fp_ieee_underflow 0
		.amdhsa_exception_fp_ieee_inexact 0
		.amdhsa_exception_int_div_zero 0
	.end_amdhsa_kernel
	.section	.text._Z20warp_exchange_kernelILj256ELj16ELj16EN6common25StripedToBlockedShuffleOpEiEvPT3_j,"axG",@progbits,_Z20warp_exchange_kernelILj256ELj16ELj16EN6common25StripedToBlockedShuffleOpEiEvPT3_j,comdat
.Lfunc_end25:
	.size	_Z20warp_exchange_kernelILj256ELj16ELj16EN6common25StripedToBlockedShuffleOpEiEvPT3_j, .Lfunc_end25-_Z20warp_exchange_kernelILj256ELj16ELj16EN6common25StripedToBlockedShuffleOpEiEvPT3_j
                                        ; -- End function
	.section	.AMDGPU.csdata,"",@progbits
; Kernel info:
; codeLenInByte = 1792
; NumSgprs: 18
; NumVgprs: 53
; ScratchSize: 0
; MemoryBound: 0
; FloatMode: 240
; IeeeMode: 1
; LDSByteSize: 16384 bytes/workgroup (compile time only)
; SGPRBlocks: 2
; VGPRBlocks: 6
; NumSGPRsForWavesPerEU: 18
; NumVGPRsForWavesPerEU: 53
; Occupancy: 16
; WaveLimiterHint : 0
; COMPUTE_PGM_RSRC2:SCRATCH_EN: 0
; COMPUTE_PGM_RSRC2:USER_SGPR: 15
; COMPUTE_PGM_RSRC2:TRAP_HANDLER: 0
; COMPUTE_PGM_RSRC2:TGID_X_EN: 1
; COMPUTE_PGM_RSRC2:TGID_Y_EN: 0
; COMPUTE_PGM_RSRC2:TGID_Z_EN: 0
; COMPUTE_PGM_RSRC2:TIDIG_COMP_CNT: 2
	.section	.text._Z20warp_exchange_kernelILj256ELj16ELj32EN6common25StripedToBlockedShuffleOpEiEvPT3_j,"axG",@progbits,_Z20warp_exchange_kernelILj256ELj16ELj32EN6common25StripedToBlockedShuffleOpEiEvPT3_j,comdat
	.protected	_Z20warp_exchange_kernelILj256ELj16ELj32EN6common25StripedToBlockedShuffleOpEiEvPT3_j ; -- Begin function _Z20warp_exchange_kernelILj256ELj16ELj32EN6common25StripedToBlockedShuffleOpEiEvPT3_j
	.globl	_Z20warp_exchange_kernelILj256ELj16ELj32EN6common25StripedToBlockedShuffleOpEiEvPT3_j
	.p2align	8
	.type	_Z20warp_exchange_kernelILj256ELj16ELj32EN6common25StripedToBlockedShuffleOpEiEvPT3_j,@function
_Z20warp_exchange_kernelILj256ELj16ELj32EN6common25StripedToBlockedShuffleOpEiEvPT3_j: ; @_Z20warp_exchange_kernelILj256ELj16ELj32EN6common25StripedToBlockedShuffleOpEiEvPT3_j
; %bb.0:
	s_load_b32 s104, s[0:1], 0x8
	v_lshlrev_b32_e32 v16, 4, v0
	s_delay_alu instid0(VALU_DEP_1)
	v_or_b32_e32 v1, 1, v16
	v_or_b32_e32 v2, 2, v16
	v_or_b32_e32 v3, 3, v16
	v_or_b32_e32 v4, 4, v16
	v_or_b32_e32 v5, 5, v16
	v_or_b32_e32 v6, 6, v16
	v_or_b32_e32 v7, 7, v16
	v_or_b32_e32 v8, 8, v16
	v_or_b32_e32 v9, 9, v16
	v_or_b32_e32 v10, 10, v16
	v_or_b32_e32 v11, 11, v16
	v_or_b32_e32 v12, 12, v16
	v_or_b32_e32 v13, 13, v16
	v_or_b32_e32 v14, 14, v16
	v_or_b32_e32 v15, 15, v16
	s_waitcnt lgkmcnt(0)
	s_cmp_eq_u32 s104, 0
	s_cbranch_scc1 .LBB26_3
; %bb.1:
	v_mbcnt_lo_u32_b32 v0, -1, 0
                                        ; implicit-def: $vgpr59
                                        ; implicit-def: $vgpr56
                                        ; implicit-def: $vgpr57
                                        ; implicit-def: $vgpr58
                                        ; implicit-def: $vgpr60
                                        ; implicit-def: $vgpr61
                                        ; implicit-def: $vgpr62
	s_delay_alu instid0(VALU_DEP_1)
	v_lshrrev_b32_e32 v51, 2, v0
	v_and_b32_e32 v31, 3, v0
	v_add_nc_u32_e32 v17, 28, v0
	v_add_nc_u32_e32 v18, 24, v0
	;; [unrolled: 1-line block ×3, first 2 shown]
	v_lshlrev_b32_e32 v20, 2, v0
	v_add_nc_u32_e32 v21, 12, v0
	v_add_nc_u32_e32 v22, 8, v0
	;; [unrolled: 1-line block ×3, first 2 shown]
	v_add_nc_u32_e32 v24, -1, v51
	v_add_nc_u32_e32 v25, 6, v51
	v_add_nc_u32_e32 v0, -1, v0
	v_xor_b32_e32 v35, 2, v31
	v_add_nc_u32_e32 v26, 5, v51
	v_and_b32_e32 v52, 7, v24
	v_xor_b32_e32 v24, 4, v51
	v_and_b32_e32 v53, 7, v25
	v_and_b32_e32 v37, 3, v0
	v_add_nc_u32_e32 v0, 3, v35
	v_and_b32_e32 v18, 31, v18
	v_and_b32_e32 v19, 31, v19
	;; [unrolled: 1-line block ×6, first 2 shown]
	v_or_b32_e32 v54, 8, v51
	v_or_b32_e32 v55, 8, v52
	v_add_nc_u32_e32 v30, 7, v24
	v_or_b32_e32 v26, 8, v53
	v_add_nc_u32_e32 v33, 6, v24
	v_add_nc_u32_e32 v36, 5, v24
	v_and_b32_e32 v44, 3, v0
	v_or_b32_e32 v48, 4, v0
	v_or_b32_e32 v50, 12, v0
	v_dual_mov_b32 v0, v16 :: v_dual_and_b32 v17, 31, v17
	v_lshlrev_b32_e32 v18, 2, v18
	v_lshlrev_b32_e32 v19, 2, v19
	v_xor_b32_e32 v20, 64, v20
	v_lshlrev_b32_e32 v21, 2, v21
	v_lshlrev_b32_e32 v17, 2, v17
	;; [unrolled: 1-line block ×4, first 2 shown]
	v_or_b32_e32 v27, 8, v25
	v_or_b32_e32 v28, 8, v24
	v_and_b32_e32 v29, 7, v30
	v_or_b32_e32 v30, 8, v30
	v_and_b32_e32 v32, 7, v33
	;; [unrolled: 2-line block ×3, first 2 shown]
	v_or_b32_e32 v36, 8, v36
	v_or_b32_e32 v38, 4, v31
	;; [unrolled: 1-line block ×11, first 2 shown]
	v_cmp_eq_u32_e32 vcc_lo, 1, v51
	v_cmp_eq_u32_e64 s2, 2, v51
	v_cmp_eq_u32_e64 s3, 3, v51
	;; [unrolled: 1-line block ×99, first 2 shown]
                                        ; implicit-def: $vgpr51
                                        ; implicit-def: $vgpr52
                                        ; implicit-def: $vgpr54
                                        ; implicit-def: $vgpr53
                                        ; implicit-def: $vgpr55
.LBB26_2:                               ; =>This Inner Loop Header: Depth=1
	ds_bpermute_b32 v63, v17, v2
	ds_bpermute_b32 v64, v17, v3
	;; [unrolled: 1-line block ×3, first 2 shown]
	v_cndmask_b32_e64 v66, v7, v0, s7
	ds_bpermute_b32 v67, v18, v5
	v_cndmask_b32_e64 v68, v6, v0, s6
	v_cndmask_b32_e64 v5, v5, v0, s5
	;; [unrolled: 1-line block ×4, first 2 shown]
	v_cmp_eq_u32_e64 s103, 7, v26
	v_cndmask_b32_e64 v68, v68, v1, s26
	v_cndmask_b32_e64 v5, v5, v1, s27
	;; [unrolled: 1-line block ×5, first 2 shown]
	v_cndmask_b32_e32 v70, v1, v0, vcc_lo
	v_cndmask_b32_e64 v71, v0, v1, s33
	ds_bpermute_b32 v6, v19, v6
	v_cndmask_b32_e64 v3, v3, v1, s29
	v_cndmask_b32_e64 v2, v2, v1, s30
	s_waitcnt lgkmcnt(4)
	v_cndmask_b32_e64 v66, v66, v63, s41
	v_cndmask_b32_e64 v68, v68, v63, s40
	v_cndmask_b32_e64 v5, v5, v63, s39
	v_cndmask_b32_e64 v69, v69, v63, s38
	v_cndmask_b32_e64 v3, v3, v63, s37
	s_waitcnt lgkmcnt(3)
	v_cndmask_b32_e64 v66, v66, v64, s59
	v_cndmask_b32_e64 v68, v68, v64, s60
	v_cndmask_b32_e64 v5, v5, v64, s61
	;; [unrolled: 6-line block ×3, first 2 shown]
	v_cndmask_b32_e64 v69, v69, v65, s70
	v_cndmask_b32_e64 v2, v2, v63, s36
	s_waitcnt lgkmcnt(1)
	v_cndmask_b32_e64 v66, v66, v67, s103
	v_cmp_eq_u32_e64 s103, 6, v26
	v_cndmask_b32_e64 v70, v70, v1, s31
	v_cndmask_b32_e64 v3, v3, v65, s69
	v_cndmask_b32_e64 v2, v2, v64, s64
	v_cndmask_b32_e64 v71, v71, v63, s34
	v_cndmask_b32_e64 v68, v68, v67, s103
	v_cmp_eq_u32_e64 s103, 5, v26
	v_cndmask_b32_e64 v70, v70, v63, s35
	v_cndmask_b32_e64 v2, v2, v65, s68
	v_cndmask_b32_e64 v71, v71, v64, s50
	v_cndmask_b32_e64 v72, v9, v0, s8
	v_cndmask_b32_e64 v5, v5, v67, s103
	v_cmp_eq_u32_e64 s103, 4, v26
	v_cndmask_b32_e64 v70, v70, v64, s65
	v_cndmask_b32_e64 v71, v71, v65, s66
	v_cndmask_b32_e64 v72, v72, v1, s24
	v_cndmask_b32_e64 v73, v10, v0, s9
	v_cndmask_b32_e64 v69, v69, v67, s103
	v_cmp_eq_u32_e64 s103, 3, v26
	v_cndmask_b32_e64 v70, v70, v65, s67
	v_cndmask_b32_e64 v71, v71, v67, s94
	v_cndmask_b32_e64 v72, v72, v63, s42
	v_cndmask_b32_e64 v73, v73, v1, s23
	v_cndmask_b32_e64 v3, v3, v67, s103
	v_cmp_eq_u32_e64 s103, 2, v26
	v_cndmask_b32_e64 v74, v11, v0, s10
	v_cndmask_b32_e64 v72, v72, v64, s58
	v_cndmask_b32_e64 v73, v73, v63, s43
	v_cndmask_b32_e64 v75, v12, v0, s11
	v_cndmask_b32_e64 v2, v2, v67, s103
	v_cmp_eq_u32_e64 s103, 1, v26
	v_cndmask_b32_e64 v74, v74, v1, s22
	v_cndmask_b32_e64 v72, v72, v65, s74
	v_cndmask_b32_e64 v73, v73, v64, s57
	v_cndmask_b32_e64 v75, v75, v1, s21
	v_cndmask_b32_e64 v70, v70, v67, s103
	v_cmp_eq_u32_e64 s103, 0, v25
	v_cndmask_b32_e64 v74, v74, v63, s44
	v_cndmask_b32_e64 v76, v13, v0, s12
	v_cndmask_b32_e64 v72, v72, v67, s102
	v_cndmask_b32_e64 v73, v73, v65, s75
	s_waitcnt lgkmcnt(0)
	v_cndmask_b32_e64 v71, v71, v6, s103
	v_cmp_eq_u32_e64 s103, 1, v25
	v_cndmask_b32_e64 v74, v74, v64, s56
	v_cndmask_b32_e64 v75, v75, v63, s45
	v_cndmask_b32_e64 v76, v76, v1, s20
	v_cndmask_b32_e64 v77, v14, v0, s13
	v_cndmask_b32_e64 v70, v70, v6, s103
	v_cmp_eq_u32_e64 s103, 2, v25
	v_cndmask_b32_e64 v73, v73, v67, s101
	v_cndmask_b32_e64 v74, v74, v65, s76
	v_cndmask_b32_e64 v75, v75, v64, s55
	v_cndmask_b32_e64 v76, v76, v63, s46
	;; [unrolled: 6-line block ×6, first 2 shown]
	v_cndmask_b32_e64 v68, v68, v6, s103
	v_cmp_eq_u32_e64 s103, 7, v25
	v_cndmask_b32_e64 v1, v1, v63, s49
	v_cndmask_b32_e64 v77, v77, v67, s97
	;; [unrolled: 1-line block ×3, first 2 shown]
	ds_bpermute_b32 v9, v20, v9
	v_cndmask_b32_e64 v66, v66, v6, s103
	v_cmp_eq_u32_e64 s103, 9, v25
	v_cndmask_b32_e64 v1, v1, v64, s51
	v_cndmask_b32_e64 v78, v78, v67, s96
	s_add_i32 s104, s104, -1
	s_delay_alu instid0(VALU_DEP_3) | instskip(SKIP_3) | instid1(VALU_DEP_2)
	v_cndmask_b32_e64 v72, v72, v6, s103
	v_cmp_eq_u32_e64 s103, 10, v25
	v_cndmask_b32_e64 v1, v1, v65, s81
	s_cmp_lg_u32 s104, 0
	; wave barrier
	v_cndmask_b32_e64 v73, v73, v6, s103
	v_cmp_eq_u32_e64 s103, 11, v25
	s_delay_alu instid0(VALU_DEP_3) | instskip(NEXT) | instid1(VALU_DEP_2)
	v_cndmask_b32_e64 v1, v1, v67, s95
	v_cndmask_b32_e64 v74, v74, v6, s103
	v_cmp_eq_u32_e64 s103, 12, v25
	s_delay_alu instid0(VALU_DEP_1) | instskip(SKIP_1) | instid1(VALU_DEP_1)
	v_cndmask_b32_e64 v75, v75, v6, s103
	v_cmp_eq_u32_e64 s103, 13, v25
	v_cndmask_b32_e64 v76, v76, v6, s103
	v_cmp_eq_u32_e64 s103, 14, v25
	s_delay_alu instid0(VALU_DEP_1) | instskip(SKIP_1) | instid1(VALU_DEP_1)
	v_cndmask_b32_e64 v77, v77, v6, s103
	v_cmp_eq_u32_e64 s103, 15, v25
	v_cndmask_b32_e64 v78, v78, v6, s103
	v_cmp_eq_u32_e64 s103, 8, v25
	s_delay_alu instid0(VALU_DEP_1) | instskip(SKIP_3) | instid1(VALU_DEP_1)
	v_cndmask_b32_e64 v1, v1, v6, s103
	ds_bpermute_b32 v6, v19, v7
	v_cmp_eq_u32_e64 s103, 0, v27
	s_waitcnt lgkmcnt(0)
	v_cndmask_b32_e64 v7, v71, v6, s103
	v_cmp_eq_u32_e64 s103, 8, v27
	s_delay_alu instid0(VALU_DEP_1) | instskip(SKIP_1) | instid1(VALU_DEP_1)
	v_cndmask_b32_e64 v1, v1, v6, s103
	v_cmp_eq_u32_e64 s103, 15, v27
	v_cndmask_b32_e64 v63, v78, v6, s103
	v_cmp_eq_u32_e64 s103, 14, v27
	s_delay_alu instid0(VALU_DEP_1) | instskip(SKIP_1) | instid1(VALU_DEP_1)
	v_cndmask_b32_e64 v64, v77, v6, s103
	v_cmp_eq_u32_e64 s103, 13, v27
	;; [unrolled: 5-line block ×7, first 2 shown]
	v_cndmask_b32_e64 v2, v2, v6, s103
	v_cmp_eq_u32_e64 s103, 1, v27
	s_delay_alu instid0(VALU_DEP_1) | instskip(SKIP_3) | instid1(VALU_DEP_1)
	v_cndmask_b32_e64 v6, v70, v6, s103
	ds_bpermute_b32 v70, v20, v8
	v_cmp_eq_u32_e64 s103, 0, v24
	s_waitcnt lgkmcnt(0)
	v_cndmask_b32_e64 v7, v7, v70, s103
	v_cmp_eq_u32_e64 s103, 1, v24
	s_delay_alu instid0(VALU_DEP_1) | instskip(SKIP_1) | instid1(VALU_DEP_1)
	v_cndmask_b32_e64 v6, v6, v70, s103
	v_cmp_eq_u32_e64 s103, 2, v24
	v_cndmask_b32_e64 v2, v2, v70, s103
	v_cmp_eq_u32_e64 s103, 3, v24
	s_delay_alu instid0(VALU_DEP_1) | instskip(SKIP_1) | instid1(VALU_DEP_1)
	v_cndmask_b32_e64 v3, v3, v70, s103
	v_cmp_eq_u32_e64 s103, 4, v24
	v_cndmask_b32_e64 v69, v69, v70, s103
	v_cmp_eq_u32_e64 s103, 5, v24
	s_delay_alu instid0(VALU_DEP_1) | instskip(SKIP_1) | instid1(VALU_DEP_1)
	v_cndmask_b32_e64 v5, v5, v70, s103
	v_cmp_eq_u32_e64 s103, 6, v24
	v_cndmask_b32_e64 v68, v68, v70, s103
	v_cmp_eq_u32_e64 s103, 7, v24
	s_delay_alu instid0(VALU_DEP_1) | instskip(SKIP_1) | instid1(VALU_DEP_1)
	v_cndmask_b32_e64 v66, v66, v70, s103
	v_cmp_eq_u32_e64 s103, 9, v24
	v_cndmask_b32_e64 v72, v72, v70, s103
	v_cmp_eq_u32_e64 s103, 10, v24
	s_delay_alu instid0(VALU_DEP_1) | instskip(SKIP_1) | instid1(VALU_DEP_1)
	v_cndmask_b32_e64 v73, v73, v70, s103
	v_cmp_eq_u32_e64 s103, 11, v24
	v_cndmask_b32_e64 v71, v71, v70, s103
	v_cmp_eq_u32_e64 s103, 12, v24
	s_delay_alu instid0(VALU_DEP_1) | instskip(SKIP_1) | instid1(VALU_DEP_1)
	v_cndmask_b32_e64 v67, v67, v70, s103
	v_cmp_eq_u32_e64 s103, 13, v24
	v_cndmask_b32_e64 v65, v65, v70, s103
	v_cmp_eq_u32_e64 s103, 14, v24
	s_delay_alu instid0(VALU_DEP_1) | instskip(SKIP_1) | instid1(VALU_DEP_1)
	v_cndmask_b32_e64 v64, v64, v70, s103
	v_cmp_eq_u32_e64 s103, 15, v24
	v_cndmask_b32_e64 v63, v63, v70, s103
	v_cmp_eq_u32_e64 s103, 8, v24
	s_delay_alu instid0(VALU_DEP_1) | instskip(SKIP_1) | instid1(VALU_DEP_1)
	v_cndmask_b32_e64 v1, v1, v70, s103
	v_cmp_eq_u32_e64 s103, 0, v28
	v_cndmask_b32_e64 v7, v7, v9, s103
	v_cmp_eq_u32_e64 s103, 8, v28
	s_delay_alu instid0(VALU_DEP_1) | instskip(SKIP_1) | instid1(VALU_DEP_1)
	v_cndmask_b32_e64 v1, v1, v9, s103
	v_cmp_eq_u32_e64 s103, 15, v28
	v_cndmask_b32_e64 v63, v63, v9, s103
	v_cmp_eq_u32_e64 s103, 14, v28
	s_delay_alu instid0(VALU_DEP_1) | instskip(SKIP_1) | instid1(VALU_DEP_1)
	v_cndmask_b32_e64 v64, v64, v9, s103
	v_cmp_eq_u32_e64 s103, 13, v28
	v_cndmask_b32_e64 v65, v65, v9, s103
	v_cmp_eq_u32_e64 s103, 12, v28
	s_delay_alu instid0(VALU_DEP_1) | instskip(SKIP_1) | instid1(VALU_DEP_1)
	v_cndmask_b32_e64 v67, v67, v9, s103
	v_cmp_eq_u32_e64 s103, 11, v28
	v_cndmask_b32_e64 v70, v71, v9, s103
	v_cmp_eq_u32_e64 s103, 10, v28
	s_delay_alu instid0(VALU_DEP_1) | instskip(SKIP_1) | instid1(VALU_DEP_1)
	v_cndmask_b32_e64 v71, v73, v9, s103
	v_cmp_eq_u32_e64 s103, 9, v28
	v_cndmask_b32_e64 v72, v72, v9, s103
	v_cmp_eq_u32_e64 s103, 7, v28
	s_delay_alu instid0(VALU_DEP_1) | instskip(SKIP_1) | instid1(VALU_DEP_1)
	v_cndmask_b32_e64 v66, v66, v9, s103
	v_cmp_eq_u32_e64 s103, 6, v28
	v_cndmask_b32_e64 v68, v68, v9, s103
	v_cmp_eq_u32_e64 s103, 5, v28
	s_delay_alu instid0(VALU_DEP_1) | instskip(SKIP_1) | instid1(VALU_DEP_1)
	v_cndmask_b32_e64 v5, v5, v9, s103
	v_cmp_eq_u32_e64 s103, 4, v28
	v_cndmask_b32_e64 v69, v69, v9, s103
	v_cmp_eq_u32_e64 s103, 3, v28
	s_delay_alu instid0(VALU_DEP_1) | instskip(SKIP_1) | instid1(VALU_DEP_1)
	v_cndmask_b32_e64 v3, v3, v9, s103
	v_cmp_eq_u32_e64 s103, 2, v28
	v_cndmask_b32_e64 v2, v2, v9, s103
	v_cmp_eq_u32_e64 s103, 1, v28
	s_delay_alu instid0(VALU_DEP_1) | instskip(SKIP_3) | instid1(VALU_DEP_1)
	v_cndmask_b32_e64 v6, v6, v9, s103
	ds_bpermute_b32 v9, v21, v10
	v_cmp_eq_u32_e64 s103, 0, v29
	s_waitcnt lgkmcnt(0)
	v_cndmask_b32_e64 v7, v7, v9, s103
	v_cmp_eq_u32_e64 s103, 1, v29
	s_delay_alu instid0(VALU_DEP_1) | instskip(SKIP_1) | instid1(VALU_DEP_1)
	v_cndmask_b32_e64 v6, v6, v9, s103
	v_cmp_eq_u32_e64 s103, 2, v29
	v_cndmask_b32_e64 v2, v2, v9, s103
	v_cmp_eq_u32_e64 s103, 3, v29
	s_delay_alu instid0(VALU_DEP_1) | instskip(SKIP_1) | instid1(VALU_DEP_1)
	v_cndmask_b32_e64 v3, v3, v9, s103
	v_cmp_eq_u32_e64 s103, 4, v29
	v_cndmask_b32_e64 v10, v69, v9, s103
	v_cmp_eq_u32_e64 s103, 5, v29
	s_delay_alu instid0(VALU_DEP_1) | instskip(SKIP_1) | instid1(VALU_DEP_1)
	v_cndmask_b32_e64 v5, v5, v9, s103
	v_cmp_eq_u32_e64 s103, 6, v29
	v_cndmask_b32_e64 v68, v68, v9, s103
	v_cmp_eq_u32_e64 s103, 7, v29
	s_delay_alu instid0(VALU_DEP_1) | instskip(SKIP_1) | instid1(VALU_DEP_1)
	v_cndmask_b32_e64 v66, v66, v9, s103
	v_cmp_eq_u32_e64 s103, 9, v29
	v_cndmask_b32_e64 v69, v72, v9, s103
	v_cmp_eq_u32_e64 s103, 10, v29
	s_delay_alu instid0(VALU_DEP_1) | instskip(SKIP_1) | instid1(VALU_DEP_1)
	v_cndmask_b32_e64 v71, v71, v9, s103
	v_cmp_eq_u32_e64 s103, 11, v29
	v_cndmask_b32_e64 v70, v70, v9, s103
	v_cmp_eq_u32_e64 s103, 12, v29
	s_delay_alu instid0(VALU_DEP_1) | instskip(SKIP_1) | instid1(VALU_DEP_1)
	v_cndmask_b32_e64 v67, v67, v9, s103
	v_cmp_eq_u32_e64 s103, 13, v29
	v_cndmask_b32_e64 v65, v65, v9, s103
	v_cmp_eq_u32_e64 s103, 14, v29
	s_delay_alu instid0(VALU_DEP_1) | instskip(SKIP_1) | instid1(VALU_DEP_1)
	v_cndmask_b32_e64 v64, v64, v9, s103
	v_cmp_eq_u32_e64 s103, 15, v29
	v_cndmask_b32_e64 v63, v63, v9, s103
	v_cmp_eq_u32_e64 s103, 8, v29
	s_delay_alu instid0(VALU_DEP_1) | instskip(SKIP_3) | instid1(VALU_DEP_1)
	v_cndmask_b32_e64 v1, v1, v9, s103
	ds_bpermute_b32 v9, v21, v11
	v_cmp_eq_u32_e64 s103, 0, v30
	s_waitcnt lgkmcnt(0)
	v_cndmask_b32_e64 v7, v7, v9, s103
	v_cmp_eq_u32_e64 s103, 8, v30
	s_delay_alu instid0(VALU_DEP_1) | instskip(SKIP_1) | instid1(VALU_DEP_1)
	v_cndmask_b32_e64 v1, v1, v9, s103
	v_cmp_eq_u32_e64 s103, 15, v30
	v_cndmask_b32_e64 v11, v63, v9, s103
	v_cmp_eq_u32_e64 s103, 14, v30
	s_delay_alu instid0(VALU_DEP_1) | instskip(SKIP_1) | instid1(VALU_DEP_1)
	v_cndmask_b32_e64 v63, v64, v9, s103
	v_cmp_eq_u32_e64 s103, 13, v30
	v_cndmask_b32_e64 v64, v65, v9, s103
	v_cmp_eq_u32_e64 s103, 12, v30
	s_delay_alu instid0(VALU_DEP_1) | instskip(SKIP_1) | instid1(VALU_DEP_1)
	v_cndmask_b32_e64 v65, v67, v9, s103
	v_cmp_eq_u32_e64 s103, 11, v30
	v_cndmask_b32_e64 v67, v70, v9, s103
	v_cmp_eq_u32_e64 s103, 10, v30
	s_delay_alu instid0(VALU_DEP_1) | instskip(SKIP_1) | instid1(VALU_DEP_1)
	v_cndmask_b32_e64 v70, v71, v9, s103
	v_cmp_eq_u32_e64 s103, 9, v30
	v_cndmask_b32_e64 v69, v69, v9, s103
	v_cmp_eq_u32_e64 s103, 7, v30
	s_delay_alu instid0(VALU_DEP_1) | instskip(SKIP_1) | instid1(VALU_DEP_1)
	v_cndmask_b32_e64 v66, v66, v9, s103
	v_cmp_eq_u32_e64 s103, 6, v30
	v_cndmask_b32_e64 v68, v68, v9, s103
	v_cmp_eq_u32_e64 s103, 5, v30
	s_delay_alu instid0(VALU_DEP_1) | instskip(SKIP_1) | instid1(VALU_DEP_1)
	v_cndmask_b32_e64 v5, v5, v9, s103
	v_cmp_eq_u32_e64 s103, 4, v30
	v_cndmask_b32_e64 v10, v10, v9, s103
	v_cmp_eq_u32_e64 s103, 3, v30
	s_delay_alu instid0(VALU_DEP_1) | instskip(SKIP_1) | instid1(VALU_DEP_1)
	v_cndmask_b32_e64 v3, v3, v9, s103
	v_cmp_eq_u32_e64 s103, 2, v30
	;; [unrolled: 42-line block ×5, first 2 shown]
	v_cndmask_b32_e64 v11, v11, v9, s103
	v_cmp_eq_u32_e64 s103, 8, v34
	s_delay_alu instid0(VALU_DEP_1) | instskip(SKIP_3) | instid1(VALU_DEP_1)
	v_cndmask_b32_e64 v1, v1, v9, s103
	ds_bpermute_b32 v9, v23, v15
	v_cmp_eq_u32_e64 s103, 0, v36
	s_waitcnt lgkmcnt(0)
	v_cndmask_b32_e64 v7, v7, v9, s103
	v_cmp_eq_u32_e64 s103, 8, v36
	s_delay_alu instid0(VALU_DEP_2) | instskip(NEXT) | instid1(VALU_DEP_2)
	v_cndmask_b32_e64 v61, v61, v7, s92
	v_cndmask_b32_e64 v13, v1, v9, s103
	v_cmp_eq_u32_e64 s103, 15, v36
	v_cndmask_b32_e64 v60, v60, v7, s91
	v_cndmask_b32_e64 v58, v58, v7, s90
	;; [unrolled: 1-line block ×5, first 2 shown]
	v_cmp_eq_u32_e64 s103, 14, v36
	v_cndmask_b32_e64 v55, v55, v7, s87
	v_cndmask_b32_e64 v59, v59, v7, s86
	;; [unrolled: 1-line block ×5, first 2 shown]
	v_cmp_eq_u32_e64 s103, 13, v36
	v_cndmask_b32_e64 v52, v52, v7, s83
	ds_bpermute_b32 v1, v17, v1
	ds_bpermute_b32 v2, v18, v2
	v_cndmask_b32_e64 v11, v63, v9, s103
	v_cmp_eq_u32_e64 s103, 12, v36
	s_delay_alu instid0(VALU_DEP_1) | instskip(SKIP_1) | instid1(VALU_DEP_1)
	v_cndmask_b32_e64 v15, v64, v9, s103
	v_cmp_eq_u32_e64 s103, 11, v36
	v_cndmask_b32_e64 v63, v65, v9, s103
	v_cmp_eq_u32_e64 s103, 10, v36
	s_waitcnt lgkmcnt(1)
	v_mov_b32_dpp v1, v1 quad_perm:[1,2,3,0] row_mask:0xf bank_mask:0xf
	s_delay_alu instid0(VALU_DEP_2) | instskip(SKIP_3) | instid1(VALU_DEP_2)
	v_cndmask_b32_e64 v64, v67, v9, s103
	v_cmp_eq_u32_e64 s103, 9, v36
	s_waitcnt lgkmcnt(0)
	v_mov_b32_dpp v2, v2 quad_perm:[1,2,3,0] row_mask:0xf bank_mask:0xf
	v_cndmask_b32_e64 v65, v69, v9, s103
	v_cmp_eq_u32_e64 s103, 7, v36
	s_delay_alu instid0(VALU_DEP_1) | instskip(SKIP_1) | instid1(VALU_DEP_1)
	v_cndmask_b32_e64 v66, v66, v9, s103
	v_cmp_eq_u32_e64 s103, 6, v36
	v_cndmask_b32_e64 v67, v68, v9, s103
	v_cmp_eq_u32_e64 s103, 5, v36
	s_delay_alu instid0(VALU_DEP_1) | instskip(SKIP_4) | instid1(VALU_DEP_1)
	v_cndmask_b32_e64 v5, v5, v9, s103
	v_cmp_eq_u32_e64 s103, 4, v36
	ds_bpermute_b32 v5, v19, v5
	v_cndmask_b32_e64 v10, v10, v9, s103
	v_cmp_eq_u32_e64 s103, 3, v36
	v_cndmask_b32_e64 v3, v3, v9, s103
	v_cmp_eq_u32_e64 s103, 2, v36
	ds_bpermute_b32 v3, v21, v3
	v_cndmask_b32_e64 v14, v14, v9, s103
	v_cmp_eq_u32_e64 s103, 1, v36
	s_delay_alu instid0(VALU_DEP_1)
	v_cndmask_b32_e64 v6, v6, v9, s103
	v_cmp_eq_u32_e64 s103, 12, v31
	s_waitcnt lgkmcnt(1)
	v_mov_b32_dpp v5, v5 quad_perm:[3,0,1,2] row_mask:0xf bank_mask:0xf
	ds_bpermute_b32 v6, v23, v6
	v_cndmask_b32_e64 v9, v12, v7, s103
	v_cmp_eq_u32_e64 s103, 8, v31
	v_cndmask_b32_e64 v12, v62, v7, s93
	s_delay_alu instid0(VALU_DEP_2) | instskip(SKIP_1) | instid1(VALU_DEP_1)
	v_cndmask_b32_e64 v8, v8, v7, s103
	v_cmp_eq_u32_e64 s103, 4, v31
	v_cndmask_b32_e64 v4, v4, v7, s103
	v_cmp_eq_u32_e64 s103, 0, v31
	s_delay_alu instid0(VALU_DEP_1) | instskip(SKIP_3) | instid1(VALU_DEP_2)
	v_cndmask_b32_e64 v0, v0, v7, s103
	v_cmp_eq_u32_e64 s103, 0, v38
	v_cndmask_b32_e64 v7, v51, v7, s82
	s_waitcnt lgkmcnt(0)
	v_cndmask_b32_e64 v0, v0, v6, s103
	v_cmp_eq_u32_e64 s103, 4, v38
	s_delay_alu instid0(VALU_DEP_1) | instskip(SKIP_1) | instid1(VALU_DEP_1)
	v_cndmask_b32_e64 v4, v4, v6, s103
	v_cmp_eq_u32_e64 s103, 8, v38
	v_cndmask_b32_e64 v8, v8, v6, s103
	v_cmp_eq_u32_e64 s103, 12, v38
	s_delay_alu instid0(VALU_DEP_1) | instskip(SKIP_1) | instid1(VALU_DEP_1)
	v_cndmask_b32_e64 v9, v9, v6, s103
	v_cmp_eq_u32_e64 s103, 15, v38
	v_cndmask_b32_e64 v12, v12, v6, s103
	v_cmp_eq_u32_e64 s103, 14, v38
	s_delay_alu instid0(VALU_DEP_1) | instskip(SKIP_1) | instid1(VALU_DEP_1)
	v_cndmask_b32_e64 v61, v61, v6, s103
	v_cmp_eq_u32_e64 s103, 13, v38
	v_cndmask_b32_e64 v60, v60, v6, s103
	v_cmp_eq_u32_e64 s103, 11, v38
	s_delay_alu instid0(VALU_DEP_1) | instskip(SKIP_1) | instid1(VALU_DEP_1)
	v_cndmask_b32_e64 v58, v58, v6, s103
	v_cmp_eq_u32_e64 s103, 10, v38
	v_cndmask_b32_e64 v57, v57, v6, s103
	v_cmp_eq_u32_e64 s103, 9, v38
	s_delay_alu instid0(VALU_DEP_1) | instskip(SKIP_1) | instid1(VALU_DEP_1)
	v_cndmask_b32_e64 v56, v56, v6, s103
	v_cmp_eq_u32_e64 s103, 7, v38
	v_cndmask_b32_e64 v55, v55, v6, s103
	v_cmp_eq_u32_e64 s103, 6, v38
	s_delay_alu instid0(VALU_DEP_1) | instskip(SKIP_1) | instid1(VALU_DEP_1)
	v_cndmask_b32_e64 v59, v59, v6, s103
	v_cmp_eq_u32_e64 s103, 5, v38
	v_cndmask_b32_e64 v53, v53, v6, s103
	v_cmp_eq_u32_e64 s103, 3, v38
	s_delay_alu instid0(VALU_DEP_1) | instskip(SKIP_1) | instid1(VALU_DEP_1)
	v_cndmask_b32_e64 v54, v54, v6, s103
	v_cmp_eq_u32_e64 s103, 2, v38
	v_cndmask_b32_e64 v52, v52, v6, s103
	v_cmp_eq_u32_e64 s103, 1, v38
	s_delay_alu instid0(VALU_DEP_1) | instskip(SKIP_3) | instid1(VALU_DEP_1)
	v_cndmask_b32_e64 v6, v7, v6, s103
	ds_bpermute_b32 v7, v22, v14
	v_cmp_eq_u32_e64 s103, 1, v39
	s_waitcnt lgkmcnt(0)
	v_cndmask_b32_e64 v6, v6, v7, s103
	v_cmp_eq_u32_e64 s103, 2, v39
	s_delay_alu instid0(VALU_DEP_1) | instskip(SKIP_1) | instid1(VALU_DEP_1)
	v_cndmask_b32_e64 v14, v52, v7, s103
	v_cmp_eq_u32_e64 s103, 3, v39
	v_cndmask_b32_e64 v51, v54, v7, s103
	v_cmp_eq_u32_e64 s103, 5, v39
	s_delay_alu instid0(VALU_DEP_1) | instskip(SKIP_1) | instid1(VALU_DEP_1)
	v_cndmask_b32_e64 v52, v53, v7, s103
	v_cmp_eq_u32_e64 s103, 6, v39
	;; [unrolled: 5-line block ×15, first 2 shown]
	v_cndmask_b32_e64 v14, v14, v3, s103
	v_cmp_eq_u32_e64 s103, 1, v40
	s_delay_alu instid0(VALU_DEP_1) | instskip(SKIP_4) | instid1(VALU_DEP_1)
	v_cndmask_b32_e64 v3, v6, v3, s103
	ds_bpermute_b32 v6, v20, v10
	v_cmp_eq_u32_e64 s103, 1, v37
	s_waitcnt lgkmcnt(0)
	v_mov_b32_dpp v6, v6 quad_perm:[3,0,1,2] row_mask:0xf bank_mask:0xf
	v_cndmask_b32_e64 v3, v3, v6, s103
	v_cmp_eq_u32_e64 s103, 2, v37
	s_delay_alu instid0(VALU_DEP_1) | instskip(SKIP_1) | instid1(VALU_DEP_1)
	v_cndmask_b32_e64 v10, v14, v6, s103
	v_cmp_eq_u32_e64 s103, 3, v37
	v_cndmask_b32_e64 v14, v51, v6, s103
	v_cmp_eq_u32_e64 s103, 5, v37
	s_delay_alu instid0(VALU_DEP_1) | instskip(SKIP_1) | instid1(VALU_DEP_1)
	v_cndmask_b32_e64 v51, v52, v6, s103
	v_cmp_eq_u32_e64 s103, 6, v37
	;; [unrolled: 5-line block ×15, first 2 shown]
	v_cndmask_b32_e64 v10, v10, v5, s103
	v_cmp_eq_u32_e64 s103, 1, v41
	s_delay_alu instid0(VALU_DEP_1) | instskip(SKIP_4) | instid1(VALU_DEP_1)
	v_cndmask_b32_e64 v3, v3, v5, s103
	ds_bpermute_b32 v5, v18, v67
	v_cmp_eq_u32_e64 s103, 1, v42
	s_waitcnt lgkmcnt(0)
	v_mov_b32_dpp v5, v5 quad_perm:[3,0,1,2] row_mask:0xf bank_mask:0xf
	v_cndmask_b32_e64 v3, v3, v5, s103
	v_cmp_eq_u32_e64 s103, 2, v42
	s_delay_alu instid0(VALU_DEP_1) | instskip(SKIP_1) | instid1(VALU_DEP_1)
	v_cndmask_b32_e64 v10, v10, v5, s103
	v_cmp_eq_u32_e64 s103, 3, v42
	v_cndmask_b32_e64 v14, v14, v5, s103
	v_cmp_eq_u32_e64 s103, 5, v42
	s_delay_alu instid0(VALU_DEP_1) | instskip(SKIP_1) | instid1(VALU_DEP_1)
	v_cndmask_b32_e64 v51, v51, v5, s103
	v_cmp_eq_u32_e64 s103, 6, v42
	;; [unrolled: 5-line block ×7, first 2 shown]
	v_cndmask_b32_e64 v4, v4, v5, s103
	v_cmp_eq_u32_e64 s103, 0, v42
	s_delay_alu instid0(VALU_DEP_1) | instskip(SKIP_4) | instid1(VALU_DEP_1)
	v_cndmask_b32_e64 v0, v0, v5, s103
	ds_bpermute_b32 v5, v17, v66
	v_cmp_eq_u32_e64 s103, 0, v43
	s_waitcnt lgkmcnt(0)
	v_mov_b32_dpp v5, v5 quad_perm:[3,0,1,2] row_mask:0xf bank_mask:0xf
	v_cndmask_b32_e64 v0, v0, v5, s103
	v_cmp_eq_u32_e64 s103, 4, v43
	s_delay_alu instid0(VALU_DEP_1) | instskip(SKIP_1) | instid1(VALU_DEP_1)
	v_cndmask_b32_e64 v4, v4, v5, s103
	v_cmp_eq_u32_e64 s103, 8, v43
	v_cndmask_b32_e64 v6, v6, v5, s103
	v_cmp_eq_u32_e64 s103, 12, v43
	s_delay_alu instid0(VALU_DEP_1) | instskip(SKIP_1) | instid1(VALU_DEP_1)
	v_cndmask_b32_e64 v7, v7, v5, s103
	v_cmp_eq_u32_e64 s103, 15, v43
	;; [unrolled: 5-line block ×7, first 2 shown]
	v_cndmask_b32_e64 v10, v10, v5, s103
	v_cmp_eq_u32_e64 s103, 1, v43
	s_delay_alu instid0(VALU_DEP_1) | instskip(SKIP_2) | instid1(VALU_DEP_1)
	v_cndmask_b32_e64 v3, v3, v5, s103
	v_mov_b32_dpp v5, v13 quad_perm:[2,3,0,1] row_mask:0xf bank_mask:0xf
	v_cmp_eq_u32_e64 s103, 1, v35
	v_cndmask_b32_e64 v3, v3, v5, s103
	v_cmp_eq_u32_e64 s103, 2, v35
	s_delay_alu instid0(VALU_DEP_1) | instskip(SKIP_1) | instid1(VALU_DEP_1)
	v_cndmask_b32_e64 v10, v10, v5, s103
	v_cmp_eq_u32_e64 s103, 3, v35
	v_cndmask_b32_e64 v13, v14, v5, s103
	v_cmp_eq_u32_e64 s103, 5, v35
	s_delay_alu instid0(VALU_DEP_1) | instskip(SKIP_1) | instid1(VALU_DEP_1)
	v_cndmask_b32_e64 v14, v51, v5, s103
	;; [unrolled: 5-line block ×7, first 2 shown]
	v_cmp_eq_u32_e64 s103, 4, v35
	v_cndmask_b32_e64 v4, v4, v5, s103
	v_cmp_eq_u32_e64 s103, 0, v35
	s_delay_alu instid0(VALU_DEP_1) | instskip(SKIP_4) | instid1(VALU_DEP_1)
	v_cndmask_b32_e64 v0, v0, v5, s103
	ds_bpermute_b32 v5, v23, v65
	v_cmp_eq_u32_e64 s103, 0, v45
	s_waitcnt lgkmcnt(0)
	v_mov_b32_dpp v5, v5 quad_perm:[2,3,0,1] row_mask:0xf bank_mask:0xf
	v_cndmask_b32_e64 v0, v0, v5, s103
	v_cmp_eq_u32_e64 s103, 4, v45
	s_delay_alu instid0(VALU_DEP_1) | instskip(SKIP_1) | instid1(VALU_DEP_1)
	v_cndmask_b32_e64 v4, v4, v5, s103
	v_cmp_eq_u32_e64 s103, 8, v45
	v_cndmask_b32_e64 v6, v6, v5, s103
	v_cmp_eq_u32_e64 s103, 12, v45
	s_delay_alu instid0(VALU_DEP_1) | instskip(SKIP_1) | instid1(VALU_DEP_1)
	v_cndmask_b32_e64 v7, v7, v5, s103
	v_cmp_eq_u32_e64 s103, 15, v45
	v_cndmask_b32_e64 v8, v8, v5, s103
	v_cmp_eq_u32_e64 s103, 14, v45
	s_delay_alu instid0(VALU_DEP_1) | instskip(SKIP_1) | instid1(VALU_DEP_1)
	v_cndmask_b32_e64 v9, v9, v5, s103
	v_cmp_eq_u32_e64 s103, 13, v45
	v_cndmask_b32_e64 v12, v12, v5, s103
	v_cmp_eq_u32_e64 s103, 11, v45
	s_delay_alu instid0(VALU_DEP_1) | instskip(SKIP_1) | instid1(VALU_DEP_1)
	v_cndmask_b32_e64 v55, v55, v5, s103
	v_cmp_eq_u32_e64 s103, 10, v45
	v_cndmask_b32_e64 v54, v54, v5, s103
	v_cmp_eq_u32_e64 s103, 9, v45
	s_delay_alu instid0(VALU_DEP_1) | instskip(SKIP_1) | instid1(VALU_DEP_1)
	v_cndmask_b32_e64 v53, v53, v5, s103
	v_cmp_eq_u32_e64 s103, 7, v45
	v_cndmask_b32_e64 v52, v52, v5, s103
	v_cmp_eq_u32_e64 s103, 6, v45
	s_delay_alu instid0(VALU_DEP_1) | instskip(SKIP_1) | instid1(VALU_DEP_1)
	v_cndmask_b32_e64 v51, v51, v5, s103
	v_cmp_eq_u32_e64 s103, 5, v45
	v_cndmask_b32_e64 v14, v14, v5, s103
	v_cmp_eq_u32_e64 s103, 3, v45
	s_delay_alu instid0(VALU_DEP_1) | instskip(SKIP_1) | instid1(VALU_DEP_1)
	v_cndmask_b32_e64 v13, v13, v5, s103
	v_cmp_eq_u32_e64 s103, 2, v45
	v_cndmask_b32_e64 v10, v10, v5, s103
	v_cmp_eq_u32_e64 s103, 1, v45
	s_delay_alu instid0(VALU_DEP_1) | instskip(SKIP_4) | instid1(VALU_DEP_1)
	v_cndmask_b32_e64 v3, v3, v5, s103
	ds_bpermute_b32 v5, v22, v64
	v_cmp_eq_u32_e64 s103, 1, v46
	s_waitcnt lgkmcnt(0)
	v_mov_b32_dpp v5, v5 quad_perm:[2,3,0,1] row_mask:0xf bank_mask:0xf
	v_cndmask_b32_e64 v3, v3, v5, s103
	v_cmp_eq_u32_e64 s103, 2, v46
	s_delay_alu instid0(VALU_DEP_1) | instskip(SKIP_1) | instid1(VALU_DEP_1)
	v_cndmask_b32_e64 v10, v10, v5, s103
	v_cmp_eq_u32_e64 s103, 3, v46
	v_cndmask_b32_e64 v13, v13, v5, s103
	v_cmp_eq_u32_e64 s103, 5, v46
	s_delay_alu instid0(VALU_DEP_1) | instskip(SKIP_1) | instid1(VALU_DEP_1)
	v_cndmask_b32_e64 v14, v14, v5, s103
	v_cmp_eq_u32_e64 s103, 6, v46
	v_cndmask_b32_e64 v51, v51, v5, s103
	v_cmp_eq_u32_e64 s103, 7, v46
	s_delay_alu instid0(VALU_DEP_1) | instskip(SKIP_1) | instid1(VALU_DEP_1)
	v_cndmask_b32_e64 v52, v52, v5, s103
	v_cmp_eq_u32_e64 s103, 9, v46
	v_cndmask_b32_e64 v53, v53, v5, s103
	v_cmp_eq_u32_e64 s103, 10, v46
	s_delay_alu instid0(VALU_DEP_1) | instskip(SKIP_1) | instid1(VALU_DEP_1)
	v_cndmask_b32_e64 v54, v54, v5, s103
	v_cmp_eq_u32_e64 s103, 11, v46
	v_cndmask_b32_e64 v55, v55, v5, s103
	v_cmp_eq_u32_e64 s103, 13, v46
	s_delay_alu instid0(VALU_DEP_1) | instskip(SKIP_1) | instid1(VALU_DEP_1)
	v_cndmask_b32_e64 v12, v12, v5, s103
	v_cmp_eq_u32_e64 s103, 14, v46
	v_cndmask_b32_e64 v9, v9, v5, s103
	v_cmp_eq_u32_e64 s103, 15, v46
	s_delay_alu instid0(VALU_DEP_1) | instskip(SKIP_1) | instid1(VALU_DEP_1)
	v_cndmask_b32_e64 v8, v8, v5, s103
	v_cmp_eq_u32_e64 s103, 12, v46
	v_cndmask_b32_e64 v7, v7, v5, s103
	v_cmp_eq_u32_e64 s103, 8, v46
	s_delay_alu instid0(VALU_DEP_1) | instskip(SKIP_1) | instid1(VALU_DEP_1)
	v_cndmask_b32_e64 v6, v6, v5, s103
	;; [unrolled: 43-line block ×5, first 2 shown]
	v_cmp_eq_u32_e64 s103, 2, v48
	v_cndmask_b32_e64 v10, v10, v5, s103
	v_cmp_eq_u32_e64 s103, 1, v48
	s_delay_alu instid0(VALU_DEP_1) | instskip(SKIP_1) | instid1(VALU_DEP_1)
	v_cndmask_b32_e64 v3, v3, v5, s103
	v_cmp_eq_u32_e64 s103, 1, v49
	v_cndmask_b32_e64 v3, v3, v2, s103
	v_cmp_eq_u32_e64 s103, 2, v49
	s_delay_alu instid0(VALU_DEP_1) | instskip(SKIP_1) | instid1(VALU_DEP_1)
	v_cndmask_b32_e64 v5, v10, v2, s103
	;; [unrolled: 5-line block ×12, first 2 shown]
	v_cmp_eq_u32_e64 s103, 13, v50
	v_cndmask_b32_e64 v60, v11, v1, s103
	v_cmp_eq_u32_e64 s103, 11, v50
	s_delay_alu instid0(VALU_DEP_1) | instskip(SKIP_1) | instid1(VALU_DEP_2)
	v_cndmask_b32_e64 v58, v53, v1, s103
	v_cmp_eq_u32_e64 s103, 10, v50
	v_mov_b32_dpp v11, v58 quad_perm:[3,0,1,2] row_mask:0xf bank_mask:0xf
	s_delay_alu instid0(VALU_DEP_2) | instskip(SKIP_1) | instid1(VALU_DEP_1)
	v_cndmask_b32_e64 v57, v52, v1, s103
	v_cmp_eq_u32_e64 s103, 9, v50
	v_cndmask_b32_e64 v56, v51, v1, s103
	v_cmp_eq_u32_e64 s103, 7, v50
	s_delay_alu instid0(VALU_DEP_2) | instskip(NEXT) | instid1(VALU_DEP_2)
	v_mov_b32_dpp v9, v56 quad_perm:[1,2,3,0] row_mask:0xf bank_mask:0xf
	v_cndmask_b32_e64 v55, v15, v1, s103
	v_cmp_eq_u32_e64 s103, 5, v50
	v_mov_b32_dpp v15, v62 quad_perm:[3,0,1,2] row_mask:0xf bank_mask:0xf
	s_delay_alu instid0(VALU_DEP_3) | instskip(NEXT) | instid1(VALU_DEP_3)
	v_mov_b32_dpp v7, v55 quad_perm:[3,0,1,2] row_mask:0xf bank_mask:0xf
	v_cndmask_b32_e64 v53, v13, v1, s103
	v_cmp_eq_u32_e64 s103, 2, v50
	v_mov_b32_dpp v13, v60 quad_perm:[1,2,3,0] row_mask:0xf bank_mask:0xf
	s_delay_alu instid0(VALU_DEP_2) | instskip(SKIP_2) | instid1(VALU_DEP_3)
	v_cndmask_b32_e64 v52, v5, v1, s103
	v_cmp_eq_u32_e64 s103, 1, v50
	v_mov_b32_dpp v5, v53 quad_perm:[1,2,3,0] row_mask:0xf bank_mask:0xf
	v_mov_b32_dpp v2, v52 quad_perm:[2,3,0,1] row_mask:0xf bank_mask:0xf
	s_delay_alu instid0(VALU_DEP_3) | instskip(SKIP_1) | instid1(VALU_DEP_1)
	v_cndmask_b32_e64 v51, v3, v1, s103
	v_cmp_eq_u32_e64 s103, 3, v50
	v_cndmask_b32_e64 v54, v10, v1, s103
	v_cmp_eq_u32_e64 s103, 6, v50
	v_mov_b32_dpp v10, v57 quad_perm:[2,3,0,1] row_mask:0xf bank_mask:0xf
	s_delay_alu instid0(VALU_DEP_3) | instskip(NEXT) | instid1(VALU_DEP_3)
	v_mov_b32_dpp v3, v54 quad_perm:[3,0,1,2] row_mask:0xf bank_mask:0xf
	v_cndmask_b32_e64 v59, v14, v1, s103
	v_mov_b32_dpp v1, v51 quad_perm:[1,2,3,0] row_mask:0xf bank_mask:0xf
	v_mov_b32_dpp v14, v61 quad_perm:[2,3,0,1] row_mask:0xf bank_mask:0xf
	s_delay_alu instid0(VALU_DEP_3)
	v_mov_b32_dpp v6, v59 quad_perm:[2,3,0,1] row_mask:0xf bank_mask:0xf
	s_cbranch_scc1 .LBB26_2
	s_branch .LBB26_4
.LBB26_3:
	v_mov_b32_e32 v0, v16
.LBB26_4:
	s_load_b64 s[0:1], s[0:1], 0x0
	v_lshl_or_b32 v16, s15, 12, v16
	v_mov_b32_e32 v17, 0
	s_delay_alu instid0(VALU_DEP_1) | instskip(SKIP_1) | instid1(VALU_DEP_1)
	v_lshlrev_b64 v[16:17], 2, v[16:17]
	s_waitcnt lgkmcnt(0)
	v_add_co_u32 v16, vcc_lo, s0, v16
	s_delay_alu instid0(VALU_DEP_2)
	v_add_co_ci_u32_e32 v17, vcc_lo, s1, v17, vcc_lo
	s_clause 0x3
	global_store_b128 v[16:17], v[0:3], off
	global_store_b128 v[16:17], v[4:7], off offset:16
	global_store_b128 v[16:17], v[8:11], off offset:32
	;; [unrolled: 1-line block ×3, first 2 shown]
	s_nop 0
	s_sendmsg sendmsg(MSG_DEALLOC_VGPRS)
	s_endpgm
	.section	.rodata,"a",@progbits
	.p2align	6, 0x0
	.amdhsa_kernel _Z20warp_exchange_kernelILj256ELj16ELj32EN6common25StripedToBlockedShuffleOpEiEvPT3_j
		.amdhsa_group_segment_fixed_size 0
		.amdhsa_private_segment_fixed_size 0
		.amdhsa_kernarg_size 12
		.amdhsa_user_sgpr_count 15
		.amdhsa_user_sgpr_dispatch_ptr 0
		.amdhsa_user_sgpr_queue_ptr 0
		.amdhsa_user_sgpr_kernarg_segment_ptr 1
		.amdhsa_user_sgpr_dispatch_id 0
		.amdhsa_user_sgpr_private_segment_size 0
		.amdhsa_wavefront_size32 1
		.amdhsa_uses_dynamic_stack 0
		.amdhsa_enable_private_segment 0
		.amdhsa_system_sgpr_workgroup_id_x 1
		.amdhsa_system_sgpr_workgroup_id_y 0
		.amdhsa_system_sgpr_workgroup_id_z 0
		.amdhsa_system_sgpr_workgroup_info 0
		.amdhsa_system_vgpr_workitem_id 0
		.amdhsa_next_free_vgpr 80
		.amdhsa_next_free_sgpr 105
		.amdhsa_reserve_vcc 1
		.amdhsa_float_round_mode_32 0
		.amdhsa_float_round_mode_16_64 0
		.amdhsa_float_denorm_mode_32 3
		.amdhsa_float_denorm_mode_16_64 3
		.amdhsa_dx10_clamp 1
		.amdhsa_ieee_mode 1
		.amdhsa_fp16_overflow 0
		.amdhsa_workgroup_processor_mode 1
		.amdhsa_memory_ordered 1
		.amdhsa_forward_progress 0
		.amdhsa_shared_vgpr_count 0
		.amdhsa_exception_fp_ieee_invalid_op 0
		.amdhsa_exception_fp_denorm_src 0
		.amdhsa_exception_fp_ieee_div_zero 0
		.amdhsa_exception_fp_ieee_overflow 0
		.amdhsa_exception_fp_ieee_underflow 0
		.amdhsa_exception_fp_ieee_inexact 0
		.amdhsa_exception_int_div_zero 0
	.end_amdhsa_kernel
	.section	.text._Z20warp_exchange_kernelILj256ELj16ELj32EN6common25StripedToBlockedShuffleOpEiEvPT3_j,"axG",@progbits,_Z20warp_exchange_kernelILj256ELj16ELj32EN6common25StripedToBlockedShuffleOpEiEvPT3_j,comdat
.Lfunc_end26:
	.size	_Z20warp_exchange_kernelILj256ELj16ELj32EN6common25StripedToBlockedShuffleOpEiEvPT3_j, .Lfunc_end26-_Z20warp_exchange_kernelILj256ELj16ELj32EN6common25StripedToBlockedShuffleOpEiEvPT3_j
                                        ; -- End function
	.section	.AMDGPU.csdata,"",@progbits
; Kernel info:
; codeLenInByte = 9952
; NumSgprs: 107
; NumVgprs: 80
; ScratchSize: 0
; MemoryBound: 0
; FloatMode: 240
; IeeeMode: 1
; LDSByteSize: 0 bytes/workgroup (compile time only)
; SGPRBlocks: 13
; VGPRBlocks: 9
; NumSGPRsForWavesPerEU: 107
; NumVGPRsForWavesPerEU: 80
; Occupancy: 16
; WaveLimiterHint : 0
; COMPUTE_PGM_RSRC2:SCRATCH_EN: 0
; COMPUTE_PGM_RSRC2:USER_SGPR: 15
; COMPUTE_PGM_RSRC2:TRAP_HANDLER: 0
; COMPUTE_PGM_RSRC2:TGID_X_EN: 1
; COMPUTE_PGM_RSRC2:TGID_Y_EN: 0
; COMPUTE_PGM_RSRC2:TGID_Z_EN: 0
; COMPUTE_PGM_RSRC2:TIDIG_COMP_CNT: 0
	.section	.text._Z20warp_exchange_kernelILj256ELj32ELj32EN6common25StripedToBlockedShuffleOpEiEvPT3_j,"axG",@progbits,_Z20warp_exchange_kernelILj256ELj32ELj32EN6common25StripedToBlockedShuffleOpEiEvPT3_j,comdat
	.protected	_Z20warp_exchange_kernelILj256ELj32ELj32EN6common25StripedToBlockedShuffleOpEiEvPT3_j ; -- Begin function _Z20warp_exchange_kernelILj256ELj32ELj32EN6common25StripedToBlockedShuffleOpEiEvPT3_j
	.globl	_Z20warp_exchange_kernelILj256ELj32ELj32EN6common25StripedToBlockedShuffleOpEiEvPT3_j
	.p2align	8
	.type	_Z20warp_exchange_kernelILj256ELj32ELj32EN6common25StripedToBlockedShuffleOpEiEvPT3_j,@function
_Z20warp_exchange_kernelILj256ELj32ELj32EN6common25StripedToBlockedShuffleOpEiEvPT3_j: ; @_Z20warp_exchange_kernelILj256ELj32ELj32EN6common25StripedToBlockedShuffleOpEiEvPT3_j
; %bb.0:
	s_load_b32 s3, s[0:1], 0x8
	v_lshlrev_b32_e32 v32, 5, v0
	s_delay_alu instid0(VALU_DEP_1)
	v_or_b32_e32 v1, 1, v32
	v_or_b32_e32 v2, 2, v32
	;; [unrolled: 1-line block ×31, first 2 shown]
	s_waitcnt lgkmcnt(0)
	s_cmp_eq_u32 s3, 0
	s_cbranch_scc1 .LBB27_3
; %bb.1:
	v_mbcnt_lo_u32_b32 v0, -1, 0
	v_mov_b32_e32 v106, 0x5c
	v_mov_b32_e32 v107, 0x64
	;; [unrolled: 1-line block ×4, first 2 shown]
	v_dual_mov_b32 v104, 0x4c :: v_dual_and_b32 v33, 16, v0
	v_and_b32_e32 v48, 8, v0
	v_and_b32_e32 v63, 4, v0
	v_and_b32_e32 v79, 2, v0
	s_delay_alu instid0(VALU_DEP_4)
	v_cmp_eq_u32_e32 vcc_lo, 0, v33
	v_dual_mov_b32 v105, 0x54 :: v_dual_lshlrev_b32 v34, 2, v33
	v_dual_mov_b32 v90, 0x58 :: v_dual_lshlrev_b32 v49, 2, v48
	v_cndmask_b32_e64 v33, 4, 0x44, vcc_lo
	v_cndmask_b32_e64 v35, 8, 0x48, vcc_lo
	v_cndmask_b32_e64 v36, 12, 0x4c, vcc_lo
	v_cndmask_b32_e64 v37, 16, 0x50, vcc_lo
	v_cndmask_b32_e64 v38, 20, 0x54, vcc_lo
	v_cndmask_b32_e64 v39, 24, 0x58, vcc_lo
	v_cndmask_b32_e64 v40, 28, 0x5c, vcc_lo
	v_cndmask_b32_e64 v41, 32, 0x60, vcc_lo
	v_cndmask_b32_e64 v42, 36, 0x64, vcc_lo
	v_dual_mov_b32 v92, 0x68 :: v_dual_lshlrev_b32 v65, 2, v63
	v_cndmask_b32_e64 v43, 40, 0x68, vcc_lo
	v_cndmask_b32_e64 v44, 44, 0x6c, vcc_lo
	v_dual_mov_b32 v77, 0x70 :: v_dual_lshlrev_b32 v78, 2, v79
	v_cndmask_b32_e64 v45, 48, 0x70, vcc_lo
	v_cndmask_b32_e64 v46, 52, 0x74, vcc_lo
	;; [unrolled: 1-line block ×3, first 2 shown]
	v_cmp_eq_u32_e64 s2, 0, v48
	v_mov_b32_e32 v110, 0x7c
	v_cndmask_b32_e64 v48, 60, 0x7c, vcc_lo
	v_cmp_eq_u32_e32 vcc_lo, 0, v63
	v_and_b32_e32 v0, 1, v0
	v_mov_b32_e32 v94, 0x78
	v_cndmask_b32_e64 v50, 4, 36, s2
	v_cndmask_b32_e64 v51, 8, 40, s2
	;; [unrolled: 1-line block ×3, first 2 shown]
	v_lshlrev_b32_e32 v93, 2, v0
	v_cndmask_b32_e64 v53, 16, 48, s2
	v_cndmask_b32_e64 v54, 20, 52, s2
	;; [unrolled: 1-line block ×12, first 2 shown]
	v_cndmask_b32_e64 v66, 4, 20, vcc_lo
	v_cndmask_b32_e64 v67, 8, 24, vcc_lo
	;; [unrolled: 1-line block ×8, first 2 shown]
	v_cndmask_b32_e32 v74, 0x44, v105, vcc_lo
	v_cndmask_b32_e32 v75, 0x48, v90, vcc_lo
	;; [unrolled: 1-line block ×4, first 2 shown]
	v_xor_b32_e32 v81, 8, v78
	v_cndmask_b32_e32 v78, 0x64, v109, vcc_lo
	v_cmp_eq_u32_e64 s2, 0, v79
	v_cndmask_b32_e32 v79, 0x68, v94, vcc_lo
	v_cndmask_b32_e32 v80, 0x6c, v110, vcc_lo
	v_cmp_eq_u32_e32 vcc_lo, 0, v0
	v_xor_b32_e32 v96, 4, v93
	v_cndmask_b32_e64 v111, 4, 12, s2
	v_xad_u32 v34, v34, 64, 0
	v_xad_u32 v49, v49, 32, 0
	v_cndmask_b32_e64 v0, 8, 12, vcc_lo
	v_xad_u32 v65, v65, 16, 0
	v_or_b32_e32 v81, 0, v81
	v_cndmask_b32_e64 v82, 16, 24, s2
	v_cndmask_b32_e64 v83, 20, 28, s2
	;; [unrolled: 1-line block ×14, first 2 shown]
	v_or_b32_e32 v96, 0, v96
	v_cndmask_b32_e64 v97, 16, 20, vcc_lo
	v_cndmask_b32_e64 v98, 24, 28, vcc_lo
	;; [unrolled: 1-line block ×7, first 2 shown]
	v_cndmask_b32_e32 v104, 0x48, v104, vcc_lo
	v_cndmask_b32_e32 v105, 0x50, v105, vcc_lo
	;; [unrolled: 1-line block ×7, first 2 shown]
	v_or_b32_e32 v111, 0, v111
	v_or_b32_e32 v112, 0, v0
	v_mov_b32_e32 v0, v32
.LBB27_2:                               ; =>This Inner Loop Header: Depth=1
	scratch_store_b128 off, v[0:3], off
	s_waitcnt vmcnt(6)
	scratch_store_b128 off, v[16:19], off offset:16
	s_waitcnt vmcnt(2)
	scratch_store_b128 off, v[28:31], off offset:32
	s_waitcnt vmcnt(1)
	s_clause 0x1
	scratch_store_b128 off, v[24:27], off offset:48
	scratch_store_b128 off, v[20:23], off offset:64
	scratch_load_b32 v0, v34, off
	s_add_i32 s3, s3, -1
	s_delay_alu instid0(SALU_CYCLE_1)
	s_cmp_lg_u32 s3, 0
	s_waitcnt vmcnt(0)
	ds_swizzle_b32 v0, v0 offset:swizzle(SWAP,16)
	scratch_store_b128 off, v[8:11], off offset:80
	s_waitcnt lgkmcnt(0)
	scratch_store_b32 v34, v0, off
	scratch_load_b32 v0, v33, off
	s_waitcnt vmcnt(0)
	ds_swizzle_b32 v0, v0 offset:swizzle(SWAP,16)
	scratch_store_b128 off, v[4:7], off offset:96
	s_waitcnt lgkmcnt(0)
	scratch_store_b32 v33, v0, off
	scratch_load_b32 v0, v35, off
	;; [unrolled: 6-line block ×3, first 2 shown]
	s_waitcnt vmcnt(0)
	ds_swizzle_b32 v0, v0 offset:swizzle(SWAP,16)
	s_waitcnt lgkmcnt(0)
	scratch_store_b32 v36, v0, off
	scratch_load_b32 v0, v37, off
	s_waitcnt vmcnt(0)
	ds_swizzle_b32 v0, v0 offset:swizzle(SWAP,16)
	s_waitcnt lgkmcnt(0)
	scratch_store_b32 v37, v0, off
	scratch_load_b32 v0, v38, off
	;; [unrolled: 5-line block ×5, first 2 shown]
	s_waitcnt vmcnt(0)
	ds_swizzle_b32 v0, v0 offset:swizzle(SWAP,16)
	s_waitcnt lgkmcnt(0)
	scratch_store_b32 v41, v0, off
	s_clause 0x1
	scratch_load_b32 v0, v42, off
	scratch_load_b32 v1, v49, off
	s_waitcnt vmcnt(1)
	ds_swizzle_b32 v0, v0 offset:swizzle(SWAP,16)
	s_waitcnt vmcnt(0)
	ds_swizzle_b32 v1, v1 offset:swizzle(SWAP,8)
	s_waitcnt lgkmcnt(1)
	scratch_store_b32 v42, v0, off
	s_waitcnt lgkmcnt(0)
	scratch_store_b32 v49, v1, off
	s_clause 0x1
	scratch_load_b32 v0, v43, off
	scratch_load_b32 v1, v50, off
	s_waitcnt vmcnt(1)
	ds_swizzle_b32 v0, v0 offset:swizzle(SWAP,16)
	s_waitcnt vmcnt(0)
	ds_swizzle_b32 v1, v1 offset:swizzle(SWAP,8)
	s_waitcnt lgkmcnt(1)
	scratch_store_b32 v43, v0, off
	;; [unrolled: 11-line block ×5, first 2 shown]
	s_waitcnt lgkmcnt(0)
	scratch_store_b32 v53, v1, off
	s_clause 0x2
	scratch_load_b32 v0, v47, off
	scratch_load_b32 v1, v54, off
	;; [unrolled: 1-line block ×3, first 2 shown]
	s_waitcnt vmcnt(2)
	ds_swizzle_b32 v0, v0 offset:swizzle(SWAP,16)
	s_waitcnt vmcnt(1)
	ds_swizzle_b32 v1, v1 offset:swizzle(SWAP,8)
	;; [unrolled: 2-line block ×3, first 2 shown]
	s_waitcnt lgkmcnt(2)
	scratch_store_b32 v47, v0, off
	s_waitcnt lgkmcnt(1)
	scratch_store_b32 v54, v1, off
	s_clause 0x1
	scratch_load_b32 v0, v48, off
	scratch_load_b32 v1, v55, off
	s_waitcnt lgkmcnt(0)
	scratch_store_b32 v65, v2, off
	scratch_load_b32 v2, v66, off
	s_waitcnt vmcnt(2)
	ds_swizzle_b32 v0, v0 offset:swizzle(SWAP,16)
	s_waitcnt vmcnt(1)
	ds_swizzle_b32 v1, v1 offset:swizzle(SWAP,8)
	s_waitcnt lgkmcnt(1)
	scratch_store_b32 v48, v0, off
	s_waitcnt lgkmcnt(0)
	scratch_store_b32 v55, v1, off
	s_clause 0x1
	scratch_load_b32 v0, v56, off
	scratch_load_b32 v1, v57, off
	s_waitcnt vmcnt(2)
	ds_swizzle_b32 v2, v2 offset:swizzle(SWAP,4)
	s_waitcnt lgkmcnt(0)
	scratch_store_b32 v66, v2, off
	scratch_load_b32 v2, v67, off
	s_waitcnt vmcnt(2)
	ds_swizzle_b32 v0, v0 offset:swizzle(SWAP,8)
	s_waitcnt vmcnt(1)
	ds_swizzle_b32 v1, v1 offset:swizzle(SWAP,8)
	s_waitcnt lgkmcnt(1)
	scratch_store_b32 v56, v0, off
	s_waitcnt lgkmcnt(0)
	scratch_store_b32 v57, v1, off
	scratch_load_b32 v0, v58, off
	s_waitcnt vmcnt(1)
	ds_swizzle_b32 v2, v2 offset:swizzle(SWAP,4)
	s_waitcnt lgkmcnt(0)
	scratch_store_b32 v67, v2, off
	s_clause 0x2
	scratch_load_b32 v1, v68, off
	scratch_load_b32 v2, v81, off
	;; [unrolled: 1-line block ×3, first 2 shown]
	s_waitcnt vmcnt(3)
	ds_swizzle_b32 v0, v0 offset:swizzle(SWAP,8)
	s_waitcnt lgkmcnt(0)
	scratch_store_b32 v58, v0, off
	scratch_load_b32 v0, v59, off
	s_waitcnt vmcnt(3)
	ds_swizzle_b32 v1, v1 offset:swizzle(SWAP,4)
	s_waitcnt vmcnt(2)
	ds_swizzle_b32 v2, v2 offset:swizzle(SWAP,2)
	s_waitcnt lgkmcnt(1)
	scratch_store_b32 v68, v1, off
	s_waitcnt lgkmcnt(0)
	scratch_store_b32 v81, v2, off
	s_clause 0x1
	scratch_load_b32 v1, v111, off
	scratch_load_b32 v2, v82, off
	s_waitcnt vmcnt(3)
	ds_swizzle_b32 v3, v3 offset:swizzle(SWAP,4)
	s_waitcnt lgkmcnt(0)
	scratch_store_b32 v69, v3, off
	scratch_load_b32 v3, v70, off
	s_waitcnt vmcnt(3)
	ds_swizzle_b32 v0, v0 offset:swizzle(SWAP,8)
	s_waitcnt lgkmcnt(0)
	scratch_store_b32 v59, v0, off
	scratch_load_b32 v0, v60, off
	s_waitcnt vmcnt(3)
	ds_swizzle_b32 v1, v1 offset:swizzle(SWAP,2)
	s_waitcnt vmcnt(2)
	ds_swizzle_b32 v2, v2 offset:swizzle(SWAP,2)
	s_waitcnt lgkmcnt(1)
	scratch_store_b32 v111, v1, off
	s_waitcnt lgkmcnt(0)
	scratch_store_b32 v82, v2, off
	s_clause 0x1
	scratch_load_b32 v1, v83, off
	scratch_load_b32 v2, v112, off
	s_waitcnt vmcnt(3)
	ds_swizzle_b32 v3, v3 offset:swizzle(SWAP,4)
	s_waitcnt lgkmcnt(0)
	scratch_store_b32 v70, v3, off
	s_waitcnt vmcnt(2)
	ds_swizzle_b32 v0, v0 offset:swizzle(SWAP,8)
	s_waitcnt lgkmcnt(0)
	scratch_store_b32 v60, v0, off
	s_clause 0x2
	scratch_load_b32 v0, v61, off
	scratch_load_b32 v3, v71, off
	;; [unrolled: 1-line block ×3, first 2 shown]
	s_waitcnt vmcnt(4)
	ds_swizzle_b32 v1, v1 offset:swizzle(SWAP,2)
	s_waitcnt vmcnt(3)
	ds_swizzle_b32 v2, v2 offset:swizzle(SWAP,1)
	;; [unrolled: 2-line block ×3, first 2 shown]
	ds_swizzle_b32 v0, v0 offset:swizzle(SWAP,8)
	s_waitcnt vmcnt(0)
	ds_swizzle_b32 v4, v4 offset:swizzle(SWAP,1)
	s_waitcnt lgkmcnt(2)
	scratch_store_b32 v71, v3, off
	s_waitcnt lgkmcnt(1)
	scratch_store_b32 v61, v0, off
	s_clause 0x2
	scratch_load_b32 v0, v62, off
	scratch_load_b32 v3, v72, off
	;; [unrolled: 1-line block ×3, first 2 shown]
	s_waitcnt vmcnt(1)
	ds_swizzle_b32 v3, v3 offset:swizzle(SWAP,4)
	ds_swizzle_b32 v0, v0 offset:swizzle(SWAP,8)
	scratch_store_b32 v83, v1, off
	scratch_load_b32 v1, v97, off
	s_waitcnt vmcnt(1)
	ds_swizzle_b32 v5, v5 offset:swizzle(SWAP,2)
	s_waitcnt lgkmcnt(1)
	scratch_store_b32 v62, v0, off
	s_clause 0x1
	scratch_load_b32 v0, v63, off
	scratch_load_b32 v6, v73, off
	scratch_store_b32 v72, v3, off
	s_waitcnt lgkmcnt(0)
	scratch_store_b32 v84, v5, off
	s_waitcnt vmcnt(2)
	ds_swizzle_b32 v7, v1 offset:swizzle(SWAP,1)
	s_clause 0x1
	scratch_load_b32 v1, v85, off
	scratch_load_b32 v3, v98, off
	s_waitcnt vmcnt(3)
	ds_swizzle_b32 v0, v0 offset:swizzle(SWAP,8)
	s_waitcnt vmcnt(2)
	ds_swizzle_b32 v5, v6 offset:swizzle(SWAP,4)
	s_waitcnt lgkmcnt(1)
	scratch_store_b32 v63, v0, off
	s_waitcnt lgkmcnt(0)
	scratch_store_b32 v73, v5, off
	s_clause 0x2
	scratch_load_b32 v0, v64, off
	scratch_load_b32 v5, v74, off
	;; [unrolled: 1-line block ×3, first 2 shown]
	s_waitcnt vmcnt(4)
	ds_swizzle_b32 v1, v1 offset:swizzle(SWAP,2)
	s_waitcnt vmcnt(3)
	ds_swizzle_b32 v8, v3 offset:swizzle(SWAP,1)
	s_waitcnt lgkmcnt(1)
	scratch_store_b32 v85, v1, off
	scratch_load_b32 v1, v99, off
	s_waitcnt vmcnt(3)
	ds_swizzle_b32 v0, v0 offset:swizzle(SWAP,8)
	s_waitcnt vmcnt(2)
	ds_swizzle_b32 v3, v5 offset:swizzle(SWAP,4)
	;; [unrolled: 2-line block ×3, first 2 shown]
	s_waitcnt lgkmcnt(2)
	scratch_store_b32 v64, v0, off
	s_waitcnt lgkmcnt(1)
	scratch_store_b32 v74, v3, off
	s_clause 0x1
	scratch_load_b32 v0, v75, off
	scratch_load_b32 v3, v77, off
	s_waitcnt lgkmcnt(0)
	scratch_store_b32 v86, v5, off
	s_waitcnt vmcnt(2)
	ds_swizzle_b32 v6, v1 offset:swizzle(SWAP,1)
	s_clause 0x1
	scratch_load_b32 v1, v87, off
	scratch_load_b32 v5, v100, off
	s_waitcnt vmcnt(3)
	ds_swizzle_b32 v0, v0 offset:swizzle(SWAP,4)
	s_waitcnt vmcnt(2)
	ds_swizzle_b32 v3, v3 offset:swizzle(SWAP,4)
	s_waitcnt lgkmcnt(1)
	scratch_store_b32 v75, v0, off
	s_waitcnt lgkmcnt(0)
	scratch_store_b32 v77, v3, off
	s_clause 0x2
	scratch_load_b32 v0, v76, off
	scratch_load_b32 v3, v78, off
	;; [unrolled: 1-line block ×3, first 2 shown]
	s_waitcnt vmcnt(4)
	ds_swizzle_b32 v1, v1 offset:swizzle(SWAP,2)
	s_waitcnt vmcnt(3)
	ds_swizzle_b32 v12, v5 offset:swizzle(SWAP,1)
	s_waitcnt lgkmcnt(1)
	scratch_store_b32 v87, v1, off
	scratch_load_b32 v1, v101, off
	s_waitcnt vmcnt(3)
	ds_swizzle_b32 v0, v0 offset:swizzle(SWAP,4)
	s_waitcnt vmcnt(2)
	ds_swizzle_b32 v3, v3 offset:swizzle(SWAP,4)
	;; [unrolled: 2-line block ×3, first 2 shown]
	s_waitcnt lgkmcnt(2)
	scratch_store_b32 v76, v0, off
	s_waitcnt lgkmcnt(1)
	scratch_store_b32 v78, v3, off
	scratch_load_b32 v9, v79, off
	s_waitcnt lgkmcnt(0)
	scratch_store_b32 v88, v5, off
	s_clause 0x1
	scratch_load_b32 v5, v89, off
	scratch_load_b32 v10, v102, off
	s_clause 0x1
	scratch_store_b32 v112, v2, off
	scratch_store_b32 v96, v4, off
	s_waitcnt vmcnt(3)
	ds_swizzle_b32 v13, v1 offset:swizzle(SWAP,1)
	scratch_load_b128 v[0:3], off, off
	s_waitcnt vmcnt(3)
	ds_swizzle_b32 v4, v9 offset:swizzle(SWAP,4)
	s_waitcnt vmcnt(2)
	ds_swizzle_b32 v5, v5 offset:swizzle(SWAP,2)
	;; [unrolled: 2-line block ×3, first 2 shown]
	s_waitcnt lgkmcnt(2)
	scratch_store_b32 v79, v4, off
	s_clause 0x2
	scratch_load_b32 v4, v80, off
	scratch_load_b32 v9, v90, off
	;; [unrolled: 1-line block ×3, first 2 shown]
	s_waitcnt lgkmcnt(1)
	scratch_store_b32 v89, v5, off
	scratch_load_b32 v5, v103, off
	s_waitcnt vmcnt(3)
	ds_swizzle_b32 v4, v4 offset:swizzle(SWAP,4)
	s_waitcnt vmcnt(2)
	ds_swizzle_b32 v9, v9 offset:swizzle(SWAP,2)
	;; [unrolled: 2-line block ×3, first 2 shown]
	s_waitcnt lgkmcnt(2)
	scratch_store_b32 v80, v4, off
	s_waitcnt lgkmcnt(1)
	scratch_store_b32 v90, v9, off
	;; [unrolled: 2-line block ×3, first 2 shown]
	s_clause 0x3
	scratch_load_b32 v4, v91, off
	scratch_load_b32 v9, v93, off
	;; [unrolled: 1-line block ×4, first 2 shown]
	s_waitcnt vmcnt(4)
	ds_swizzle_b32 v5, v5 offset:swizzle(SWAP,1)
	s_waitcnt vmcnt(3)
	ds_swizzle_b32 v4, v4 offset:swizzle(SWAP,2)
	;; [unrolled: 2-line block ×5, first 2 shown]
	s_waitcnt lgkmcnt(3)
	scratch_store_b32 v91, v4, off
	s_waitcnt lgkmcnt(2)
	scratch_store_b32 v93, v9, off
	;; [unrolled: 2-line block ×3, first 2 shown]
	s_clause 0x4
	scratch_load_b32 v4, v95, off
	scratch_load_b32 v9, v105, off
	;; [unrolled: 1-line block ×5, first 2 shown]
	s_waitcnt vmcnt(4)
	ds_swizzle_b32 v4, v4 offset:swizzle(SWAP,2)
	s_waitcnt vmcnt(3)
	ds_swizzle_b32 v9, v9 offset:swizzle(SWAP,1)
	;; [unrolled: 2-line block ×5, first 2 shown]
	s_waitcnt lgkmcnt(4)
	scratch_store_b32 v95, v4, off
	s_clause 0x1
	scratch_load_b32 v4, v109, off
	scratch_load_b32 v20, v110, off
	s_clause 0x1
	scratch_store_b32 v97, v7, off
	scratch_store_b32 v98, v8, off
	scratch_load_b128 v[16:19], off, off offset:16
	s_clause 0x2
	scratch_store_b32 v102, v10, off
	scratch_store_b32 v103, v5, off
	;; [unrolled: 1-line block ×3, first 2 shown]
	s_waitcnt vmcnt(2)
	ds_swizzle_b32 v113, v4 offset:swizzle(SWAP,1)
	s_waitcnt vmcnt(1)
	ds_swizzle_b32 v114, v20 offset:swizzle(SWAP,1)
	scratch_load_b128 v[20:23], off, off offset:64
	scratch_store_b32 v99, v6, off
	s_waitcnt lgkmcnt(5)
	scratch_store_b32 v105, v9, off
	s_waitcnt lgkmcnt(4)
	;; [unrolled: 2-line block ×4, first 2 shown]
	scratch_store_b32 v108, v24, off
	s_clause 0x1
	scratch_load_b128 v[8:11], off, off offset:80
	scratch_load_b128 v[4:7], off, off offset:96
	s_clause 0x1
	scratch_store_b32 v100, v12, off
	scratch_store_b32 v101, v13, off
	s_clause 0x1
	scratch_load_b128 v[28:31], off, off offset:32
	scratch_load_b128 v[24:27], off, off offset:48
	s_waitcnt lgkmcnt(1)
	scratch_store_b32 v109, v113, off
	s_waitcnt lgkmcnt(0)
	scratch_store_b32 v110, v114, off
	scratch_load_b128 v[12:15], off, off offset:112
	; wave barrier
	s_cbranch_scc1 .LBB27_2
	s_branch .LBB27_4
.LBB27_3:
	v_mov_b32_e32 v0, v32
.LBB27_4:
	s_load_b64 s[0:1], s[0:1], 0x0
	v_lshl_or_b32 v32, s15, 13, v32
	v_mov_b32_e32 v33, 0
	s_delay_alu instid0(VALU_DEP_1) | instskip(SKIP_1) | instid1(VALU_DEP_1)
	v_lshlrev_b64 v[32:33], 2, v[32:33]
	s_waitcnt lgkmcnt(0)
	v_add_co_u32 v32, vcc_lo, s0, v32
	s_delay_alu instid0(VALU_DEP_2)
	v_add_co_ci_u32_e32 v33, vcc_lo, s1, v33, vcc_lo
	global_store_b128 v[32:33], v[0:3], off
	s_waitcnt vmcnt(6)
	global_store_b128 v[32:33], v[16:19], off offset:16
	s_waitcnt vmcnt(2)
	global_store_b128 v[32:33], v[28:31], off offset:32
	s_waitcnt vmcnt(1)
	s_clause 0x3
	global_store_b128 v[32:33], v[24:27], off offset:48
	global_store_b128 v[32:33], v[20:23], off offset:64
	;; [unrolled: 1-line block ×4, first 2 shown]
	s_waitcnt vmcnt(0)
	global_store_b128 v[32:33], v[12:15], off offset:112
	s_endpgm
	.section	.rodata,"a",@progbits
	.p2align	6, 0x0
	.amdhsa_kernel _Z20warp_exchange_kernelILj256ELj32ELj32EN6common25StripedToBlockedShuffleOpEiEvPT3_j
		.amdhsa_group_segment_fixed_size 0
		.amdhsa_private_segment_fixed_size 144
		.amdhsa_kernarg_size 12
		.amdhsa_user_sgpr_count 15
		.amdhsa_user_sgpr_dispatch_ptr 0
		.amdhsa_user_sgpr_queue_ptr 0
		.amdhsa_user_sgpr_kernarg_segment_ptr 1
		.amdhsa_user_sgpr_dispatch_id 0
		.amdhsa_user_sgpr_private_segment_size 0
		.amdhsa_wavefront_size32 1
		.amdhsa_uses_dynamic_stack 0
		.amdhsa_enable_private_segment 1
		.amdhsa_system_sgpr_workgroup_id_x 1
		.amdhsa_system_sgpr_workgroup_id_y 0
		.amdhsa_system_sgpr_workgroup_id_z 0
		.amdhsa_system_sgpr_workgroup_info 0
		.amdhsa_system_vgpr_workitem_id 0
		.amdhsa_next_free_vgpr 115
		.amdhsa_next_free_sgpr 16
		.amdhsa_reserve_vcc 1
		.amdhsa_float_round_mode_32 0
		.amdhsa_float_round_mode_16_64 0
		.amdhsa_float_denorm_mode_32 3
		.amdhsa_float_denorm_mode_16_64 3
		.amdhsa_dx10_clamp 1
		.amdhsa_ieee_mode 1
		.amdhsa_fp16_overflow 0
		.amdhsa_workgroup_processor_mode 1
		.amdhsa_memory_ordered 1
		.amdhsa_forward_progress 0
		.amdhsa_shared_vgpr_count 0
		.amdhsa_exception_fp_ieee_invalid_op 0
		.amdhsa_exception_fp_denorm_src 0
		.amdhsa_exception_fp_ieee_div_zero 0
		.amdhsa_exception_fp_ieee_overflow 0
		.amdhsa_exception_fp_ieee_underflow 0
		.amdhsa_exception_fp_ieee_inexact 0
		.amdhsa_exception_int_div_zero 0
	.end_amdhsa_kernel
	.section	.text._Z20warp_exchange_kernelILj256ELj32ELj32EN6common25StripedToBlockedShuffleOpEiEvPT3_j,"axG",@progbits,_Z20warp_exchange_kernelILj256ELj32ELj32EN6common25StripedToBlockedShuffleOpEiEvPT3_j,comdat
.Lfunc_end27:
	.size	_Z20warp_exchange_kernelILj256ELj32ELj32EN6common25StripedToBlockedShuffleOpEiEvPT3_j, .Lfunc_end27-_Z20warp_exchange_kernelILj256ELj32ELj32EN6common25StripedToBlockedShuffleOpEiEvPT3_j
                                        ; -- End function
	.section	.AMDGPU.csdata,"",@progbits
; Kernel info:
; codeLenInByte = 4036
; NumSgprs: 18
; NumVgprs: 115
; ScratchSize: 144
; MemoryBound: 0
; FloatMode: 240
; IeeeMode: 1
; LDSByteSize: 0 bytes/workgroup (compile time only)
; SGPRBlocks: 2
; VGPRBlocks: 14
; NumSGPRsForWavesPerEU: 18
; NumVGPRsForWavesPerEU: 115
; Occupancy: 12
; WaveLimiterHint : 0
; COMPUTE_PGM_RSRC2:SCRATCH_EN: 1
; COMPUTE_PGM_RSRC2:USER_SGPR: 15
; COMPUTE_PGM_RSRC2:TRAP_HANDLER: 0
; COMPUTE_PGM_RSRC2:TGID_X_EN: 1
; COMPUTE_PGM_RSRC2:TGID_Y_EN: 0
; COMPUTE_PGM_RSRC2:TGID_Z_EN: 0
; COMPUTE_PGM_RSRC2:TIDIG_COMP_CNT: 0
	.section	.text._Z20warp_exchange_kernelILj256ELj1ELj16E18ScatterToStripedOpiEvPT3_j,"axG",@progbits,_Z20warp_exchange_kernelILj256ELj1ELj16E18ScatterToStripedOpiEvPT3_j,comdat
	.protected	_Z20warp_exchange_kernelILj256ELj1ELj16E18ScatterToStripedOpiEvPT3_j ; -- Begin function _Z20warp_exchange_kernelILj256ELj1ELj16E18ScatterToStripedOpiEvPT3_j
	.globl	_Z20warp_exchange_kernelILj256ELj1ELj16E18ScatterToStripedOpiEvPT3_j
	.p2align	8
	.type	_Z20warp_exchange_kernelILj256ELj1ELj16E18ScatterToStripedOpiEvPT3_j,@function
_Z20warp_exchange_kernelILj256ELj1ELj16E18ScatterToStripedOpiEvPT3_j: ; @_Z20warp_exchange_kernelILj256ELj1ELj16E18ScatterToStripedOpiEvPT3_j
; %bb.0:
	s_load_b32 s2, s[0:1], 0x8
	s_waitcnt lgkmcnt(0)
	s_cmp_eq_u32 s2, 0
	s_cbranch_scc1 .LBB28_3
; %bb.1:
	v_not_b32_e32 v1, v0
	v_lshlrev_b32_e32 v2, 2, v0
	v_mbcnt_lo_u32_b32 v3, -1, 0
	s_delay_alu instid0(VALU_DEP_3) | instskip(NEXT) | instid1(VALU_DEP_3)
	v_and_b32_e32 v1, 15, v1
	v_and_b32_e32 v4, 0x3c0, v2
	s_delay_alu instid0(VALU_DEP_3) | instskip(NEXT) | instid1(VALU_DEP_2)
	v_and_b32_e32 v3, 15, v3
	v_lshl_or_b32 v2, v1, 2, v4
	v_mov_b32_e32 v1, v0
	s_delay_alu instid0(VALU_DEP_3)
	v_lshl_or_b32 v3, v3, 2, v4
.LBB28_2:                               ; =>This Inner Loop Header: Depth=1
	s_waitcnt lgkmcnt(0)
	ds_store_b32 v2, v1
	; wave barrier
	ds_load_b32 v1, v3
	s_add_i32 s2, s2, -1
	s_delay_alu instid0(SALU_CYCLE_1)
	s_cmp_lg_u32 s2, 0
	; wave barrier
	s_cbranch_scc1 .LBB28_2
	s_branch .LBB28_4
.LBB28_3:
	v_mov_b32_e32 v1, v0
.LBB28_4:
	s_load_b64 s[0:1], s[0:1], 0x0
	v_lshl_or_b32 v2, s15, 8, v0
	v_mov_b32_e32 v3, 0
	s_delay_alu instid0(VALU_DEP_1) | instskip(SKIP_1) | instid1(VALU_DEP_1)
	v_lshlrev_b64 v[2:3], 2, v[2:3]
	s_waitcnt lgkmcnt(0)
	v_add_co_u32 v2, vcc_lo, s0, v2
	s_delay_alu instid0(VALU_DEP_2)
	v_add_co_ci_u32_e32 v3, vcc_lo, s1, v3, vcc_lo
	global_store_b32 v[2:3], v1, off
	s_nop 0
	s_sendmsg sendmsg(MSG_DEALLOC_VGPRS)
	s_endpgm
	.section	.rodata,"a",@progbits
	.p2align	6, 0x0
	.amdhsa_kernel _Z20warp_exchange_kernelILj256ELj1ELj16E18ScatterToStripedOpiEvPT3_j
		.amdhsa_group_segment_fixed_size 1024
		.amdhsa_private_segment_fixed_size 0
		.amdhsa_kernarg_size 12
		.amdhsa_user_sgpr_count 15
		.amdhsa_user_sgpr_dispatch_ptr 0
		.amdhsa_user_sgpr_queue_ptr 0
		.amdhsa_user_sgpr_kernarg_segment_ptr 1
		.amdhsa_user_sgpr_dispatch_id 0
		.amdhsa_user_sgpr_private_segment_size 0
		.amdhsa_wavefront_size32 1
		.amdhsa_uses_dynamic_stack 0
		.amdhsa_enable_private_segment 0
		.amdhsa_system_sgpr_workgroup_id_x 1
		.amdhsa_system_sgpr_workgroup_id_y 0
		.amdhsa_system_sgpr_workgroup_id_z 0
		.amdhsa_system_sgpr_workgroup_info 0
		.amdhsa_system_vgpr_workitem_id 0
		.amdhsa_next_free_vgpr 5
		.amdhsa_next_free_sgpr 16
		.amdhsa_reserve_vcc 1
		.amdhsa_float_round_mode_32 0
		.amdhsa_float_round_mode_16_64 0
		.amdhsa_float_denorm_mode_32 3
		.amdhsa_float_denorm_mode_16_64 3
		.amdhsa_dx10_clamp 1
		.amdhsa_ieee_mode 1
		.amdhsa_fp16_overflow 0
		.amdhsa_workgroup_processor_mode 1
		.amdhsa_memory_ordered 1
		.amdhsa_forward_progress 0
		.amdhsa_shared_vgpr_count 0
		.amdhsa_exception_fp_ieee_invalid_op 0
		.amdhsa_exception_fp_denorm_src 0
		.amdhsa_exception_fp_ieee_div_zero 0
		.amdhsa_exception_fp_ieee_overflow 0
		.amdhsa_exception_fp_ieee_underflow 0
		.amdhsa_exception_fp_ieee_inexact 0
		.amdhsa_exception_int_div_zero 0
	.end_amdhsa_kernel
	.section	.text._Z20warp_exchange_kernelILj256ELj1ELj16E18ScatterToStripedOpiEvPT3_j,"axG",@progbits,_Z20warp_exchange_kernelILj256ELj1ELj16E18ScatterToStripedOpiEvPT3_j,comdat
.Lfunc_end28:
	.size	_Z20warp_exchange_kernelILj256ELj1ELj16E18ScatterToStripedOpiEvPT3_j, .Lfunc_end28-_Z20warp_exchange_kernelILj256ELj1ELj16E18ScatterToStripedOpiEvPT3_j
                                        ; -- End function
	.section	.AMDGPU.csdata,"",@progbits
; Kernel info:
; codeLenInByte = 200
; NumSgprs: 18
; NumVgprs: 5
; ScratchSize: 0
; MemoryBound: 0
; FloatMode: 240
; IeeeMode: 1
; LDSByteSize: 1024 bytes/workgroup (compile time only)
; SGPRBlocks: 2
; VGPRBlocks: 0
; NumSGPRsForWavesPerEU: 18
; NumVGPRsForWavesPerEU: 5
; Occupancy: 16
; WaveLimiterHint : 0
; COMPUTE_PGM_RSRC2:SCRATCH_EN: 0
; COMPUTE_PGM_RSRC2:USER_SGPR: 15
; COMPUTE_PGM_RSRC2:TRAP_HANDLER: 0
; COMPUTE_PGM_RSRC2:TGID_X_EN: 1
; COMPUTE_PGM_RSRC2:TGID_Y_EN: 0
; COMPUTE_PGM_RSRC2:TGID_Z_EN: 0
; COMPUTE_PGM_RSRC2:TIDIG_COMP_CNT: 0
	.section	.text._Z20warp_exchange_kernelILj256ELj1ELj32E18ScatterToStripedOpiEvPT3_j,"axG",@progbits,_Z20warp_exchange_kernelILj256ELj1ELj32E18ScatterToStripedOpiEvPT3_j,comdat
	.protected	_Z20warp_exchange_kernelILj256ELj1ELj32E18ScatterToStripedOpiEvPT3_j ; -- Begin function _Z20warp_exchange_kernelILj256ELj1ELj32E18ScatterToStripedOpiEvPT3_j
	.globl	_Z20warp_exchange_kernelILj256ELj1ELj32E18ScatterToStripedOpiEvPT3_j
	.p2align	8
	.type	_Z20warp_exchange_kernelILj256ELj1ELj32E18ScatterToStripedOpiEvPT3_j,@function
_Z20warp_exchange_kernelILj256ELj1ELj32E18ScatterToStripedOpiEvPT3_j: ; @_Z20warp_exchange_kernelILj256ELj1ELj32E18ScatterToStripedOpiEvPT3_j
; %bb.0:
	s_load_b32 s2, s[0:1], 0x8
	s_waitcnt lgkmcnt(0)
	s_cmp_eq_u32 s2, 0
	s_cbranch_scc1 .LBB29_3
; %bb.1:
	v_not_b32_e32 v1, v0
	v_lshlrev_b32_e32 v2, 2, v0
	v_mbcnt_lo_u32_b32 v4, -1, 0
	s_delay_alu instid0(VALU_DEP_3) | instskip(NEXT) | instid1(VALU_DEP_3)
	v_and_b32_e32 v1, 31, v1
	v_and_b32_e32 v3, 0x380, v2
	s_delay_alu instid0(VALU_DEP_1)
	v_lshl_or_b32 v2, v1, 2, v3
	v_mov_b32_e32 v1, v0
	v_lshl_or_b32 v3, v4, 2, v3
.LBB29_2:                               ; =>This Inner Loop Header: Depth=1
	s_waitcnt lgkmcnt(0)
	ds_store_b32 v2, v1
	; wave barrier
	ds_load_b32 v1, v3
	s_add_i32 s2, s2, -1
	s_delay_alu instid0(SALU_CYCLE_1)
	s_cmp_lg_u32 s2, 0
	; wave barrier
	s_cbranch_scc1 .LBB29_2
	s_branch .LBB29_4
.LBB29_3:
	v_mov_b32_e32 v1, v0
.LBB29_4:
	s_load_b64 s[0:1], s[0:1], 0x0
	v_lshl_or_b32 v2, s15, 8, v0
	v_mov_b32_e32 v3, 0
	s_delay_alu instid0(VALU_DEP_1) | instskip(SKIP_1) | instid1(VALU_DEP_1)
	v_lshlrev_b64 v[2:3], 2, v[2:3]
	s_waitcnt lgkmcnt(0)
	v_add_co_u32 v2, vcc_lo, s0, v2
	s_delay_alu instid0(VALU_DEP_2)
	v_add_co_ci_u32_e32 v3, vcc_lo, s1, v3, vcc_lo
	global_store_b32 v[2:3], v1, off
	s_nop 0
	s_sendmsg sendmsg(MSG_DEALLOC_VGPRS)
	s_endpgm
	.section	.rodata,"a",@progbits
	.p2align	6, 0x0
	.amdhsa_kernel _Z20warp_exchange_kernelILj256ELj1ELj32E18ScatterToStripedOpiEvPT3_j
		.amdhsa_group_segment_fixed_size 1024
		.amdhsa_private_segment_fixed_size 0
		.amdhsa_kernarg_size 12
		.amdhsa_user_sgpr_count 15
		.amdhsa_user_sgpr_dispatch_ptr 0
		.amdhsa_user_sgpr_queue_ptr 0
		.amdhsa_user_sgpr_kernarg_segment_ptr 1
		.amdhsa_user_sgpr_dispatch_id 0
		.amdhsa_user_sgpr_private_segment_size 0
		.amdhsa_wavefront_size32 1
		.amdhsa_uses_dynamic_stack 0
		.amdhsa_enable_private_segment 0
		.amdhsa_system_sgpr_workgroup_id_x 1
		.amdhsa_system_sgpr_workgroup_id_y 0
		.amdhsa_system_sgpr_workgroup_id_z 0
		.amdhsa_system_sgpr_workgroup_info 0
		.amdhsa_system_vgpr_workitem_id 0
		.amdhsa_next_free_vgpr 5
		.amdhsa_next_free_sgpr 16
		.amdhsa_reserve_vcc 1
		.amdhsa_float_round_mode_32 0
		.amdhsa_float_round_mode_16_64 0
		.amdhsa_float_denorm_mode_32 3
		.amdhsa_float_denorm_mode_16_64 3
		.amdhsa_dx10_clamp 1
		.amdhsa_ieee_mode 1
		.amdhsa_fp16_overflow 0
		.amdhsa_workgroup_processor_mode 1
		.amdhsa_memory_ordered 1
		.amdhsa_forward_progress 0
		.amdhsa_shared_vgpr_count 0
		.amdhsa_exception_fp_ieee_invalid_op 0
		.amdhsa_exception_fp_denorm_src 0
		.amdhsa_exception_fp_ieee_div_zero 0
		.amdhsa_exception_fp_ieee_overflow 0
		.amdhsa_exception_fp_ieee_underflow 0
		.amdhsa_exception_fp_ieee_inexact 0
		.amdhsa_exception_int_div_zero 0
	.end_amdhsa_kernel
	.section	.text._Z20warp_exchange_kernelILj256ELj1ELj32E18ScatterToStripedOpiEvPT3_j,"axG",@progbits,_Z20warp_exchange_kernelILj256ELj1ELj32E18ScatterToStripedOpiEvPT3_j,comdat
.Lfunc_end29:
	.size	_Z20warp_exchange_kernelILj256ELj1ELj32E18ScatterToStripedOpiEvPT3_j, .Lfunc_end29-_Z20warp_exchange_kernelILj256ELj1ELj32E18ScatterToStripedOpiEvPT3_j
                                        ; -- End function
	.section	.AMDGPU.csdata,"",@progbits
; Kernel info:
; codeLenInByte = 192
; NumSgprs: 18
; NumVgprs: 5
; ScratchSize: 0
; MemoryBound: 0
; FloatMode: 240
; IeeeMode: 1
; LDSByteSize: 1024 bytes/workgroup (compile time only)
; SGPRBlocks: 2
; VGPRBlocks: 0
; NumSGPRsForWavesPerEU: 18
; NumVGPRsForWavesPerEU: 5
; Occupancy: 16
; WaveLimiterHint : 0
; COMPUTE_PGM_RSRC2:SCRATCH_EN: 0
; COMPUTE_PGM_RSRC2:USER_SGPR: 15
; COMPUTE_PGM_RSRC2:TRAP_HANDLER: 0
; COMPUTE_PGM_RSRC2:TGID_X_EN: 1
; COMPUTE_PGM_RSRC2:TGID_Y_EN: 0
; COMPUTE_PGM_RSRC2:TGID_Z_EN: 0
; COMPUTE_PGM_RSRC2:TIDIG_COMP_CNT: 0
	.section	.text._Z20warp_exchange_kernelILj256ELj4ELj16E18ScatterToStripedOpiEvPT3_j,"axG",@progbits,_Z20warp_exchange_kernelILj256ELj4ELj16E18ScatterToStripedOpiEvPT3_j,comdat
	.protected	_Z20warp_exchange_kernelILj256ELj4ELj16E18ScatterToStripedOpiEvPT3_j ; -- Begin function _Z20warp_exchange_kernelILj256ELj4ELj16E18ScatterToStripedOpiEvPT3_j
	.globl	_Z20warp_exchange_kernelILj256ELj4ELj16E18ScatterToStripedOpiEvPT3_j
	.p2align	8
	.type	_Z20warp_exchange_kernelILj256ELj4ELj16E18ScatterToStripedOpiEvPT3_j,@function
_Z20warp_exchange_kernelILj256ELj4ELj16E18ScatterToStripedOpiEvPT3_j: ; @_Z20warp_exchange_kernelILj256ELj4ELj16E18ScatterToStripedOpiEvPT3_j
; %bb.0:
	s_load_b32 s2, s[0:1], 0x8
	v_lshlrev_b32_e32 v4, 2, v0
	s_delay_alu instid0(VALU_DEP_1)
	v_or_b32_e32 v1, 1, v4
	v_or_b32_e32 v2, 2, v4
	;; [unrolled: 1-line block ×3, first 2 shown]
	s_waitcnt lgkmcnt(0)
	s_cmp_eq_u32 s2, 0
	s_cbranch_scc1 .LBB30_3
; %bb.1:
	v_and_b32_e32 v6, 60, v4
	v_lshlrev_b32_e32 v0, 4, v0
	v_mbcnt_lo_u32_b32 v5, -1, 0
	s_delay_alu instid0(VALU_DEP_3) | instskip(NEXT) | instid1(VALU_DEP_3)
	v_xor_b32_e32 v7, 60, v6
	v_and_b32_e32 v0, 0xf00, v0
	s_delay_alu instid0(VALU_DEP_3) | instskip(NEXT) | instid1(VALU_DEP_2)
	v_and_b32_e32 v8, 15, v5
	v_lshl_or_b32 v5, v7, 2, v0
	v_lshl_or_b32 v6, v6, 2, v0
	s_delay_alu instid0(VALU_DEP_3)
	v_lshl_or_b32 v7, v8, 2, v0
	v_mov_b32_e32 v0, v4
.LBB30_2:                               ; =>This Inner Loop Header: Depth=1
	s_waitcnt lgkmcnt(1)
	ds_store_b32 v5, v0
	ds_store_b32 v6, v1 offset:4
	s_waitcnt lgkmcnt(2)
	ds_store_b32 v5, v2 offset:8
	ds_store_b32 v6, v3 offset:12
	; wave barrier
	ds_load_2addr_b32 v[0:1], v7 offset1:16
	ds_load_2addr_b32 v[2:3], v7 offset0:32 offset1:48
	s_add_i32 s2, s2, -1
	s_delay_alu instid0(SALU_CYCLE_1)
	s_cmp_lg_u32 s2, 0
	; wave barrier
	s_cbranch_scc1 .LBB30_2
	s_branch .LBB30_4
.LBB30_3:
	v_mov_b32_e32 v0, v4
.LBB30_4:
	s_load_b64 s[0:1], s[0:1], 0x0
	v_lshl_or_b32 v4, s15, 10, v4
	v_mov_b32_e32 v5, 0
	s_delay_alu instid0(VALU_DEP_1) | instskip(SKIP_1) | instid1(VALU_DEP_1)
	v_lshlrev_b64 v[4:5], 2, v[4:5]
	s_waitcnt lgkmcnt(0)
	v_add_co_u32 v4, vcc_lo, s0, v4
	s_delay_alu instid0(VALU_DEP_2)
	v_add_co_ci_u32_e32 v5, vcc_lo, s1, v5, vcc_lo
	global_store_b128 v[4:5], v[0:3], off
	s_nop 0
	s_sendmsg sendmsg(MSG_DEALLOC_VGPRS)
	s_endpgm
	.section	.rodata,"a",@progbits
	.p2align	6, 0x0
	.amdhsa_kernel _Z20warp_exchange_kernelILj256ELj4ELj16E18ScatterToStripedOpiEvPT3_j
		.amdhsa_group_segment_fixed_size 4096
		.amdhsa_private_segment_fixed_size 0
		.amdhsa_kernarg_size 12
		.amdhsa_user_sgpr_count 15
		.amdhsa_user_sgpr_dispatch_ptr 0
		.amdhsa_user_sgpr_queue_ptr 0
		.amdhsa_user_sgpr_kernarg_segment_ptr 1
		.amdhsa_user_sgpr_dispatch_id 0
		.amdhsa_user_sgpr_private_segment_size 0
		.amdhsa_wavefront_size32 1
		.amdhsa_uses_dynamic_stack 0
		.amdhsa_enable_private_segment 0
		.amdhsa_system_sgpr_workgroup_id_x 1
		.amdhsa_system_sgpr_workgroup_id_y 0
		.amdhsa_system_sgpr_workgroup_id_z 0
		.amdhsa_system_sgpr_workgroup_info 0
		.amdhsa_system_vgpr_workitem_id 0
		.amdhsa_next_free_vgpr 9
		.amdhsa_next_free_sgpr 16
		.amdhsa_reserve_vcc 1
		.amdhsa_float_round_mode_32 0
		.amdhsa_float_round_mode_16_64 0
		.amdhsa_float_denorm_mode_32 3
		.amdhsa_float_denorm_mode_16_64 3
		.amdhsa_dx10_clamp 1
		.amdhsa_ieee_mode 1
		.amdhsa_fp16_overflow 0
		.amdhsa_workgroup_processor_mode 1
		.amdhsa_memory_ordered 1
		.amdhsa_forward_progress 0
		.amdhsa_shared_vgpr_count 0
		.amdhsa_exception_fp_ieee_invalid_op 0
		.amdhsa_exception_fp_denorm_src 0
		.amdhsa_exception_fp_ieee_div_zero 0
		.amdhsa_exception_fp_ieee_overflow 0
		.amdhsa_exception_fp_ieee_underflow 0
		.amdhsa_exception_fp_ieee_inexact 0
		.amdhsa_exception_int_div_zero 0
	.end_amdhsa_kernel
	.section	.text._Z20warp_exchange_kernelILj256ELj4ELj16E18ScatterToStripedOpiEvPT3_j,"axG",@progbits,_Z20warp_exchange_kernelILj256ELj4ELj16E18ScatterToStripedOpiEvPT3_j,comdat
.Lfunc_end30:
	.size	_Z20warp_exchange_kernelILj256ELj4ELj16E18ScatterToStripedOpiEvPT3_j, .Lfunc_end30-_Z20warp_exchange_kernelILj256ELj4ELj16E18ScatterToStripedOpiEvPT3_j
                                        ; -- End function
	.section	.AMDGPU.csdata,"",@progbits
; Kernel info:
; codeLenInByte = 264
; NumSgprs: 18
; NumVgprs: 9
; ScratchSize: 0
; MemoryBound: 0
; FloatMode: 240
; IeeeMode: 1
; LDSByteSize: 4096 bytes/workgroup (compile time only)
; SGPRBlocks: 2
; VGPRBlocks: 1
; NumSGPRsForWavesPerEU: 18
; NumVGPRsForWavesPerEU: 9
; Occupancy: 16
; WaveLimiterHint : 0
; COMPUTE_PGM_RSRC2:SCRATCH_EN: 0
; COMPUTE_PGM_RSRC2:USER_SGPR: 15
; COMPUTE_PGM_RSRC2:TRAP_HANDLER: 0
; COMPUTE_PGM_RSRC2:TGID_X_EN: 1
; COMPUTE_PGM_RSRC2:TGID_Y_EN: 0
; COMPUTE_PGM_RSRC2:TGID_Z_EN: 0
; COMPUTE_PGM_RSRC2:TIDIG_COMP_CNT: 0
	.section	.text._Z20warp_exchange_kernelILj256ELj4ELj32E18ScatterToStripedOpiEvPT3_j,"axG",@progbits,_Z20warp_exchange_kernelILj256ELj4ELj32E18ScatterToStripedOpiEvPT3_j,comdat
	.protected	_Z20warp_exchange_kernelILj256ELj4ELj32E18ScatterToStripedOpiEvPT3_j ; -- Begin function _Z20warp_exchange_kernelILj256ELj4ELj32E18ScatterToStripedOpiEvPT3_j
	.globl	_Z20warp_exchange_kernelILj256ELj4ELj32E18ScatterToStripedOpiEvPT3_j
	.p2align	8
	.type	_Z20warp_exchange_kernelILj256ELj4ELj32E18ScatterToStripedOpiEvPT3_j,@function
_Z20warp_exchange_kernelILj256ELj4ELj32E18ScatterToStripedOpiEvPT3_j: ; @_Z20warp_exchange_kernelILj256ELj4ELj32E18ScatterToStripedOpiEvPT3_j
; %bb.0:
	s_load_b32 s2, s[0:1], 0x8
	v_lshlrev_b32_e32 v4, 2, v0
	s_delay_alu instid0(VALU_DEP_1)
	v_or_b32_e32 v1, 1, v4
	v_or_b32_e32 v2, 2, v4
	v_or_b32_e32 v3, 3, v4
	s_waitcnt lgkmcnt(0)
	s_cmp_eq_u32 s2, 0
	s_cbranch_scc1 .LBB31_3
; %bb.1:
	v_and_b32_e32 v6, 0x7c, v4
	v_lshlrev_b32_e32 v0, 4, v0
	v_mbcnt_lo_u32_b32 v7, -1, 0
	s_delay_alu instid0(VALU_DEP_3) | instskip(NEXT) | instid1(VALU_DEP_3)
	v_xor_b32_e32 v5, 0x7c, v6
	v_and_b32_e32 v0, 0xe00, v0
	s_delay_alu instid0(VALU_DEP_1)
	v_lshl_or_b32 v5, v5, 2, v0
	v_lshl_or_b32 v6, v6, 2, v0
	;; [unrolled: 1-line block ×3, first 2 shown]
	v_mov_b32_e32 v0, v4
.LBB31_2:                               ; =>This Inner Loop Header: Depth=1
	s_waitcnt lgkmcnt(1)
	ds_store_b32 v5, v0
	ds_store_b32 v6, v1 offset:4
	s_waitcnt lgkmcnt(2)
	ds_store_b32 v5, v2 offset:8
	ds_store_b32 v6, v3 offset:12
	; wave barrier
	ds_load_2addr_b32 v[0:1], v7 offset1:32
	ds_load_2addr_b32 v[2:3], v7 offset0:64 offset1:96
	s_add_i32 s2, s2, -1
	s_delay_alu instid0(SALU_CYCLE_1)
	s_cmp_lg_u32 s2, 0
	; wave barrier
	s_cbranch_scc1 .LBB31_2
	s_branch .LBB31_4
.LBB31_3:
	v_mov_b32_e32 v0, v4
.LBB31_4:
	s_load_b64 s[0:1], s[0:1], 0x0
	v_lshl_or_b32 v4, s15, 10, v4
	v_mov_b32_e32 v5, 0
	s_delay_alu instid0(VALU_DEP_1) | instskip(SKIP_1) | instid1(VALU_DEP_1)
	v_lshlrev_b64 v[4:5], 2, v[4:5]
	s_waitcnt lgkmcnt(0)
	v_add_co_u32 v4, vcc_lo, s0, v4
	s_delay_alu instid0(VALU_DEP_2)
	v_add_co_ci_u32_e32 v5, vcc_lo, s1, v5, vcc_lo
	global_store_b128 v[4:5], v[0:3], off
	s_nop 0
	s_sendmsg sendmsg(MSG_DEALLOC_VGPRS)
	s_endpgm
	.section	.rodata,"a",@progbits
	.p2align	6, 0x0
	.amdhsa_kernel _Z20warp_exchange_kernelILj256ELj4ELj32E18ScatterToStripedOpiEvPT3_j
		.amdhsa_group_segment_fixed_size 4096
		.amdhsa_private_segment_fixed_size 0
		.amdhsa_kernarg_size 12
		.amdhsa_user_sgpr_count 15
		.amdhsa_user_sgpr_dispatch_ptr 0
		.amdhsa_user_sgpr_queue_ptr 0
		.amdhsa_user_sgpr_kernarg_segment_ptr 1
		.amdhsa_user_sgpr_dispatch_id 0
		.amdhsa_user_sgpr_private_segment_size 0
		.amdhsa_wavefront_size32 1
		.amdhsa_uses_dynamic_stack 0
		.amdhsa_enable_private_segment 0
		.amdhsa_system_sgpr_workgroup_id_x 1
		.amdhsa_system_sgpr_workgroup_id_y 0
		.amdhsa_system_sgpr_workgroup_id_z 0
		.amdhsa_system_sgpr_workgroup_info 0
		.amdhsa_system_vgpr_workitem_id 0
		.amdhsa_next_free_vgpr 8
		.amdhsa_next_free_sgpr 16
		.amdhsa_reserve_vcc 1
		.amdhsa_float_round_mode_32 0
		.amdhsa_float_round_mode_16_64 0
		.amdhsa_float_denorm_mode_32 3
		.amdhsa_float_denorm_mode_16_64 3
		.amdhsa_dx10_clamp 1
		.amdhsa_ieee_mode 1
		.amdhsa_fp16_overflow 0
		.amdhsa_workgroup_processor_mode 1
		.amdhsa_memory_ordered 1
		.amdhsa_forward_progress 0
		.amdhsa_shared_vgpr_count 0
		.amdhsa_exception_fp_ieee_invalid_op 0
		.amdhsa_exception_fp_denorm_src 0
		.amdhsa_exception_fp_ieee_div_zero 0
		.amdhsa_exception_fp_ieee_overflow 0
		.amdhsa_exception_fp_ieee_underflow 0
		.amdhsa_exception_fp_ieee_inexact 0
		.amdhsa_exception_int_div_zero 0
	.end_amdhsa_kernel
	.section	.text._Z20warp_exchange_kernelILj256ELj4ELj32E18ScatterToStripedOpiEvPT3_j,"axG",@progbits,_Z20warp_exchange_kernelILj256ELj4ELj32E18ScatterToStripedOpiEvPT3_j,comdat
.Lfunc_end31:
	.size	_Z20warp_exchange_kernelILj256ELj4ELj32E18ScatterToStripedOpiEvPT3_j, .Lfunc_end31-_Z20warp_exchange_kernelILj256ELj4ELj32E18ScatterToStripedOpiEvPT3_j
                                        ; -- End function
	.section	.AMDGPU.csdata,"",@progbits
; Kernel info:
; codeLenInByte = 264
; NumSgprs: 18
; NumVgprs: 8
; ScratchSize: 0
; MemoryBound: 0
; FloatMode: 240
; IeeeMode: 1
; LDSByteSize: 4096 bytes/workgroup (compile time only)
; SGPRBlocks: 2
; VGPRBlocks: 0
; NumSGPRsForWavesPerEU: 18
; NumVGPRsForWavesPerEU: 8
; Occupancy: 16
; WaveLimiterHint : 0
; COMPUTE_PGM_RSRC2:SCRATCH_EN: 0
; COMPUTE_PGM_RSRC2:USER_SGPR: 15
; COMPUTE_PGM_RSRC2:TRAP_HANDLER: 0
; COMPUTE_PGM_RSRC2:TGID_X_EN: 1
; COMPUTE_PGM_RSRC2:TGID_Y_EN: 0
; COMPUTE_PGM_RSRC2:TGID_Z_EN: 0
; COMPUTE_PGM_RSRC2:TIDIG_COMP_CNT: 0
	.section	.text._Z20warp_exchange_kernelILj256ELj16ELj16E18ScatterToStripedOpiEvPT3_j,"axG",@progbits,_Z20warp_exchange_kernelILj256ELj16ELj16E18ScatterToStripedOpiEvPT3_j,comdat
	.protected	_Z20warp_exchange_kernelILj256ELj16ELj16E18ScatterToStripedOpiEvPT3_j ; -- Begin function _Z20warp_exchange_kernelILj256ELj16ELj16E18ScatterToStripedOpiEvPT3_j
	.globl	_Z20warp_exchange_kernelILj256ELj16ELj16E18ScatterToStripedOpiEvPT3_j
	.p2align	8
	.type	_Z20warp_exchange_kernelILj256ELj16ELj16E18ScatterToStripedOpiEvPT3_j,@function
_Z20warp_exchange_kernelILj256ELj16ELj16E18ScatterToStripedOpiEvPT3_j: ; @_Z20warp_exchange_kernelILj256ELj16ELj16E18ScatterToStripedOpiEvPT3_j
; %bb.0:
	s_load_b32 s2, s[0:1], 0x8
	v_lshlrev_b32_e32 v17, 4, v0
	s_delay_alu instid0(VALU_DEP_1)
	v_or_b32_e32 v6, 1, v17
	v_or_b32_e32 v7, 2, v17
	;; [unrolled: 1-line block ×15, first 2 shown]
	s_waitcnt lgkmcnt(0)
	s_cmp_eq_u32 s2, 0
	s_cbranch_scc1 .LBB32_3
; %bb.1:
	v_lshlrev_b32_e32 v0, 6, v0
	v_mbcnt_lo_u32_b32 v5, -1, 0
	v_and_b32_e32 v19, 0xf0, v17
	s_delay_alu instid0(VALU_DEP_3) | instskip(NEXT) | instid1(VALU_DEP_3)
	v_and_b32_e32 v20, 0x3c00, v0
	v_and_b32_e32 v0, 15, v5
	s_delay_alu instid0(VALU_DEP_3) | instskip(NEXT) | instid1(VALU_DEP_3)
	v_xor_b32_e32 v5, 0xf0, v19
	v_lshl_or_b32 v19, v19, 2, v20
	s_delay_alu instid0(VALU_DEP_3) | instskip(NEXT) | instid1(VALU_DEP_3)
	v_lshl_or_b32 v0, v0, 2, v20
	v_lshl_or_b32 v18, v5, 2, v20
	v_mov_b32_e32 v5, v17
.LBB32_2:                               ; =>This Inner Loop Header: Depth=1
	s_waitcnt lgkmcnt(7)
	ds_store_b32 v18, v5
	ds_store_b32 v19, v6 offset:4
	s_waitcnt lgkmcnt(8)
	ds_store_b32 v18, v7 offset:8
	ds_store_b32 v19, v8 offset:12
	s_waitcnt lgkmcnt(9)
	ds_store_b32 v18, v1 offset:16
	ds_store_b32 v19, v2 offset:20
	s_waitcnt lgkmcnt(10)
	ds_store_b32 v18, v3 offset:24
	ds_store_b32 v19, v4 offset:28
	s_waitcnt lgkmcnt(11)
	ds_store_b32 v18, v13 offset:32
	ds_store_b32 v19, v14 offset:36
	s_waitcnt lgkmcnt(12)
	ds_store_b32 v18, v15 offset:40
	ds_store_b32 v19, v16 offset:44
	s_waitcnt lgkmcnt(13)
	ds_store_b32 v18, v9 offset:48
	ds_store_b32 v19, v10 offset:52
	s_waitcnt lgkmcnt(14)
	ds_store_b32 v18, v11 offset:56
	ds_store_b32 v19, v12 offset:60
	; wave barrier
	ds_load_2addr_b32 v[5:6], v0 offset1:16
	ds_load_2addr_b32 v[7:8], v0 offset0:32 offset1:48
	ds_load_2addr_b32 v[1:2], v0 offset0:64 offset1:80
	;; [unrolled: 1-line block ×7, first 2 shown]
	s_add_i32 s2, s2, -1
	s_delay_alu instid0(SALU_CYCLE_1)
	s_cmp_lg_u32 s2, 0
	; wave barrier
	s_cbranch_scc1 .LBB32_2
	s_branch .LBB32_4
.LBB32_3:
	v_mov_b32_e32 v5, v17
.LBB32_4:
	s_load_b64 s[0:1], s[0:1], 0x0
	v_lshl_or_b32 v17, s15, 12, v17
	v_mov_b32_e32 v18, 0
	s_delay_alu instid0(VALU_DEP_1) | instskip(SKIP_1) | instid1(VALU_DEP_1)
	v_lshlrev_b64 v[17:18], 2, v[17:18]
	s_waitcnt lgkmcnt(0)
	v_add_co_u32 v17, vcc_lo, s0, v17
	s_delay_alu instid0(VALU_DEP_2)
	v_add_co_ci_u32_e32 v18, vcc_lo, s1, v18, vcc_lo
	s_clause 0x3
	global_store_b128 v[17:18], v[5:8], off
	global_store_b128 v[17:18], v[1:4], off offset:16
	global_store_b128 v[17:18], v[13:16], off offset:32
	;; [unrolled: 1-line block ×3, first 2 shown]
	s_nop 0
	s_sendmsg sendmsg(MSG_DEALLOC_VGPRS)
	s_endpgm
	.section	.rodata,"a",@progbits
	.p2align	6, 0x0
	.amdhsa_kernel _Z20warp_exchange_kernelILj256ELj16ELj16E18ScatterToStripedOpiEvPT3_j
		.amdhsa_group_segment_fixed_size 16384
		.amdhsa_private_segment_fixed_size 0
		.amdhsa_kernarg_size 12
		.amdhsa_user_sgpr_count 15
		.amdhsa_user_sgpr_dispatch_ptr 0
		.amdhsa_user_sgpr_queue_ptr 0
		.amdhsa_user_sgpr_kernarg_segment_ptr 1
		.amdhsa_user_sgpr_dispatch_id 0
		.amdhsa_user_sgpr_private_segment_size 0
		.amdhsa_wavefront_size32 1
		.amdhsa_uses_dynamic_stack 0
		.amdhsa_enable_private_segment 0
		.amdhsa_system_sgpr_workgroup_id_x 1
		.amdhsa_system_sgpr_workgroup_id_y 0
		.amdhsa_system_sgpr_workgroup_id_z 0
		.amdhsa_system_sgpr_workgroup_info 0
		.amdhsa_system_vgpr_workitem_id 0
		.amdhsa_next_free_vgpr 21
		.amdhsa_next_free_sgpr 16
		.amdhsa_reserve_vcc 1
		.amdhsa_float_round_mode_32 0
		.amdhsa_float_round_mode_16_64 0
		.amdhsa_float_denorm_mode_32 3
		.amdhsa_float_denorm_mode_16_64 3
		.amdhsa_dx10_clamp 1
		.amdhsa_ieee_mode 1
		.amdhsa_fp16_overflow 0
		.amdhsa_workgroup_processor_mode 1
		.amdhsa_memory_ordered 1
		.amdhsa_forward_progress 0
		.amdhsa_shared_vgpr_count 0
		.amdhsa_exception_fp_ieee_invalid_op 0
		.amdhsa_exception_fp_denorm_src 0
		.amdhsa_exception_fp_ieee_div_zero 0
		.amdhsa_exception_fp_ieee_overflow 0
		.amdhsa_exception_fp_ieee_underflow 0
		.amdhsa_exception_fp_ieee_inexact 0
		.amdhsa_exception_int_div_zero 0
	.end_amdhsa_kernel
	.section	.text._Z20warp_exchange_kernelILj256ELj16ELj16E18ScatterToStripedOpiEvPT3_j,"axG",@progbits,_Z20warp_exchange_kernelILj256ELj16ELj16E18ScatterToStripedOpiEvPT3_j,comdat
.Lfunc_end32:
	.size	_Z20warp_exchange_kernelILj256ELj16ELj16E18ScatterToStripedOpiEvPT3_j, .Lfunc_end32-_Z20warp_exchange_kernelILj256ELj16ELj16E18ScatterToStripedOpiEvPT3_j
                                        ; -- End function
	.section	.AMDGPU.csdata,"",@progbits
; Kernel info:
; codeLenInByte = 516
; NumSgprs: 18
; NumVgprs: 21
; ScratchSize: 0
; MemoryBound: 0
; FloatMode: 240
; IeeeMode: 1
; LDSByteSize: 16384 bytes/workgroup (compile time only)
; SGPRBlocks: 2
; VGPRBlocks: 2
; NumSGPRsForWavesPerEU: 18
; NumVGPRsForWavesPerEU: 21
; Occupancy: 16
; WaveLimiterHint : 0
; COMPUTE_PGM_RSRC2:SCRATCH_EN: 0
; COMPUTE_PGM_RSRC2:USER_SGPR: 15
; COMPUTE_PGM_RSRC2:TRAP_HANDLER: 0
; COMPUTE_PGM_RSRC2:TGID_X_EN: 1
; COMPUTE_PGM_RSRC2:TGID_Y_EN: 0
; COMPUTE_PGM_RSRC2:TGID_Z_EN: 0
; COMPUTE_PGM_RSRC2:TIDIG_COMP_CNT: 0
	.section	.text._Z20warp_exchange_kernelILj256ELj16ELj32E18ScatterToStripedOpiEvPT3_j,"axG",@progbits,_Z20warp_exchange_kernelILj256ELj16ELj32E18ScatterToStripedOpiEvPT3_j,comdat
	.protected	_Z20warp_exchange_kernelILj256ELj16ELj32E18ScatterToStripedOpiEvPT3_j ; -- Begin function _Z20warp_exchange_kernelILj256ELj16ELj32E18ScatterToStripedOpiEvPT3_j
	.globl	_Z20warp_exchange_kernelILj256ELj16ELj32E18ScatterToStripedOpiEvPT3_j
	.p2align	8
	.type	_Z20warp_exchange_kernelILj256ELj16ELj32E18ScatterToStripedOpiEvPT3_j,@function
_Z20warp_exchange_kernelILj256ELj16ELj32E18ScatterToStripedOpiEvPT3_j: ; @_Z20warp_exchange_kernelILj256ELj16ELj32E18ScatterToStripedOpiEvPT3_j
; %bb.0:
	s_load_b32 s2, s[0:1], 0x8
	v_lshlrev_b32_e32 v17, 4, v0
	s_delay_alu instid0(VALU_DEP_1)
	v_or_b32_e32 v6, 1, v17
	v_or_b32_e32 v7, 2, v17
	v_or_b32_e32 v8, 3, v17
	v_or_b32_e32 v1, 4, v17
	v_or_b32_e32 v2, 5, v17
	v_or_b32_e32 v3, 6, v17
	v_or_b32_e32 v4, 7, v17
	v_or_b32_e32 v13, 8, v17
	v_or_b32_e32 v14, 9, v17
	v_or_b32_e32 v15, 10, v17
	v_or_b32_e32 v16, 11, v17
	v_or_b32_e32 v9, 12, v17
	v_or_b32_e32 v10, 13, v17
	v_or_b32_e32 v11, 14, v17
	v_or_b32_e32 v12, 15, v17
	s_waitcnt lgkmcnt(0)
	s_cmp_eq_u32 s2, 0
	s_cbranch_scc1 .LBB33_3
; %bb.1:
	v_lshlrev_b32_e32 v0, 6, v0
	v_and_b32_e32 v5, 0x1f0, v17
	v_mbcnt_lo_u32_b32 v18, -1, 0
	s_delay_alu instid0(VALU_DEP_3) | instskip(NEXT) | instid1(VALU_DEP_3)
	v_and_b32_e32 v19, 0x3800, v0
	v_xor_b32_e32 v20, 0x1f0, v5
	s_delay_alu instid0(VALU_DEP_2) | instskip(NEXT) | instid1(VALU_DEP_2)
	v_lshl_or_b32 v0, v18, 2, v19
	v_lshl_or_b32 v18, v20, 2, v19
	;; [unrolled: 1-line block ×3, first 2 shown]
	s_delay_alu instid0(VALU_DEP_3)
	v_dual_mov_b32 v5, v17 :: v_dual_add_nc_u32 v20, 0x400, v0
.LBB33_2:                               ; =>This Inner Loop Header: Depth=1
	s_waitcnt lgkmcnt(7)
	ds_store_b32 v18, v5
	ds_store_b32 v19, v6 offset:4
	s_waitcnt lgkmcnt(8)
	ds_store_b32 v18, v7 offset:8
	ds_store_b32 v19, v8 offset:12
	s_waitcnt lgkmcnt(9)
	ds_store_b32 v18, v1 offset:16
	;; [unrolled: 3-line block ×7, first 2 shown]
	ds_store_b32 v19, v12 offset:60
	; wave barrier
	ds_load_2addr_b32 v[5:6], v0 offset1:32
	ds_load_2addr_b32 v[7:8], v0 offset0:64 offset1:96
	ds_load_2addr_b32 v[1:2], v0 offset0:128 offset1:160
	;; [unrolled: 1-line block ×3, first 2 shown]
	ds_load_2addr_b32 v[13:14], v20 offset1:32
	ds_load_2addr_b32 v[15:16], v20 offset0:64 offset1:96
	ds_load_2addr_b32 v[9:10], v20 offset0:128 offset1:160
	;; [unrolled: 1-line block ×3, first 2 shown]
	s_add_i32 s2, s2, -1
	s_delay_alu instid0(SALU_CYCLE_1)
	s_cmp_lg_u32 s2, 0
	; wave barrier
	s_cbranch_scc1 .LBB33_2
	s_branch .LBB33_4
.LBB33_3:
	v_mov_b32_e32 v5, v17
.LBB33_4:
	s_load_b64 s[0:1], s[0:1], 0x0
	v_lshl_or_b32 v17, s15, 12, v17
	v_mov_b32_e32 v18, 0
	s_delay_alu instid0(VALU_DEP_1) | instskip(SKIP_1) | instid1(VALU_DEP_1)
	v_lshlrev_b64 v[17:18], 2, v[17:18]
	s_waitcnt lgkmcnt(0)
	v_add_co_u32 v17, vcc_lo, s0, v17
	s_delay_alu instid0(VALU_DEP_2)
	v_add_co_ci_u32_e32 v18, vcc_lo, s1, v18, vcc_lo
	s_clause 0x3
	global_store_b128 v[17:18], v[5:8], off
	global_store_b128 v[17:18], v[1:4], off offset:16
	global_store_b128 v[17:18], v[13:16], off offset:32
	;; [unrolled: 1-line block ×3, first 2 shown]
	s_nop 0
	s_sendmsg sendmsg(MSG_DEALLOC_VGPRS)
	s_endpgm
	.section	.rodata,"a",@progbits
	.p2align	6, 0x0
	.amdhsa_kernel _Z20warp_exchange_kernelILj256ELj16ELj32E18ScatterToStripedOpiEvPT3_j
		.amdhsa_group_segment_fixed_size 16384
		.amdhsa_private_segment_fixed_size 0
		.amdhsa_kernarg_size 12
		.amdhsa_user_sgpr_count 15
		.amdhsa_user_sgpr_dispatch_ptr 0
		.amdhsa_user_sgpr_queue_ptr 0
		.amdhsa_user_sgpr_kernarg_segment_ptr 1
		.amdhsa_user_sgpr_dispatch_id 0
		.amdhsa_user_sgpr_private_segment_size 0
		.amdhsa_wavefront_size32 1
		.amdhsa_uses_dynamic_stack 0
		.amdhsa_enable_private_segment 0
		.amdhsa_system_sgpr_workgroup_id_x 1
		.amdhsa_system_sgpr_workgroup_id_y 0
		.amdhsa_system_sgpr_workgroup_id_z 0
		.amdhsa_system_sgpr_workgroup_info 0
		.amdhsa_system_vgpr_workitem_id 0
		.amdhsa_next_free_vgpr 21
		.amdhsa_next_free_sgpr 16
		.amdhsa_reserve_vcc 1
		.amdhsa_float_round_mode_32 0
		.amdhsa_float_round_mode_16_64 0
		.amdhsa_float_denorm_mode_32 3
		.amdhsa_float_denorm_mode_16_64 3
		.amdhsa_dx10_clamp 1
		.amdhsa_ieee_mode 1
		.amdhsa_fp16_overflow 0
		.amdhsa_workgroup_processor_mode 1
		.amdhsa_memory_ordered 1
		.amdhsa_forward_progress 0
		.amdhsa_shared_vgpr_count 0
		.amdhsa_exception_fp_ieee_invalid_op 0
		.amdhsa_exception_fp_denorm_src 0
		.amdhsa_exception_fp_ieee_div_zero 0
		.amdhsa_exception_fp_ieee_overflow 0
		.amdhsa_exception_fp_ieee_underflow 0
		.amdhsa_exception_fp_ieee_inexact 0
		.amdhsa_exception_int_div_zero 0
	.end_amdhsa_kernel
	.section	.text._Z20warp_exchange_kernelILj256ELj16ELj32E18ScatterToStripedOpiEvPT3_j,"axG",@progbits,_Z20warp_exchange_kernelILj256ELj16ELj32E18ScatterToStripedOpiEvPT3_j,comdat
.Lfunc_end33:
	.size	_Z20warp_exchange_kernelILj256ELj16ELj32E18ScatterToStripedOpiEvPT3_j, .Lfunc_end33-_Z20warp_exchange_kernelILj256ELj16ELj32E18ScatterToStripedOpiEvPT3_j
                                        ; -- End function
	.section	.AMDGPU.csdata,"",@progbits
; Kernel info:
; codeLenInByte = 520
; NumSgprs: 18
; NumVgprs: 21
; ScratchSize: 0
; MemoryBound: 0
; FloatMode: 240
; IeeeMode: 1
; LDSByteSize: 16384 bytes/workgroup (compile time only)
; SGPRBlocks: 2
; VGPRBlocks: 2
; NumSGPRsForWavesPerEU: 18
; NumVGPRsForWavesPerEU: 21
; Occupancy: 16
; WaveLimiterHint : 0
; COMPUTE_PGM_RSRC2:SCRATCH_EN: 0
; COMPUTE_PGM_RSRC2:USER_SGPR: 15
; COMPUTE_PGM_RSRC2:TRAP_HANDLER: 0
; COMPUTE_PGM_RSRC2:TGID_X_EN: 1
; COMPUTE_PGM_RSRC2:TGID_Y_EN: 0
; COMPUTE_PGM_RSRC2:TGID_Z_EN: 0
; COMPUTE_PGM_RSRC2:TIDIG_COMP_CNT: 0
	.section	.text._Z20warp_exchange_kernelILj256ELj1ELj16EN6common18BlockedToStripedOpEnEvPT3_j,"axG",@progbits,_Z20warp_exchange_kernelILj256ELj1ELj16EN6common18BlockedToStripedOpEnEvPT3_j,comdat
	.protected	_Z20warp_exchange_kernelILj256ELj1ELj16EN6common18BlockedToStripedOpEnEvPT3_j ; -- Begin function _Z20warp_exchange_kernelILj256ELj1ELj16EN6common18BlockedToStripedOpEnEvPT3_j
	.globl	_Z20warp_exchange_kernelILj256ELj1ELj16EN6common18BlockedToStripedOpEnEvPT3_j
	.p2align	8
	.type	_Z20warp_exchange_kernelILj256ELj1ELj16EN6common18BlockedToStripedOpEnEvPT3_j,@function
_Z20warp_exchange_kernelILj256ELj1ELj16EN6common18BlockedToStripedOpEnEvPT3_j: ; @_Z20warp_exchange_kernelILj256ELj1ELj16EN6common18BlockedToStripedOpEnEvPT3_j
; %bb.0:
	s_load_b32 s2, s[0:1], 0x8
	v_mov_b32_e32 v1, 0
	s_waitcnt lgkmcnt(0)
	s_cmp_eq_u32 s2, 0
	s_cbranch_scc1 .LBB34_3
; %bb.1:
	v_mbcnt_lo_u32_b32 v2, -1, 0
	v_lshlrev_b32_e32 v5, 4, v0
	v_mov_b32_e32 v3, 0
	v_mov_b32_e32 v4, 0
	s_delay_alu instid0(VALU_DEP_4) | instskip(NEXT) | instid1(VALU_DEP_1)
	v_and_b32_e32 v2, 15, v2
	v_lshlrev_b32_e32 v2, 4, v2
	s_delay_alu instid0(VALU_DEP_1)
	v_and_or_b32 v5, 0xf00, v5, v2
	v_mov_b32_e32 v2, v1
	v_mov_b32_e32 v1, v0
.LBB34_2:                               ; =>This Inner Loop Header: Depth=1
	s_waitcnt lgkmcnt(0)
	ds_store_b128 v5, v[1:4]
	; wave barrier
	ds_load_b128 v[1:4], v5
	s_add_i32 s2, s2, -1
	s_delay_alu instid0(SALU_CYCLE_1)
	s_cmp_lg_u32 s2, 0
	; wave barrier
	s_cbranch_scc1 .LBB34_2
	s_branch .LBB34_4
.LBB34_3:
	s_delay_alu instid0(VALU_DEP_1)
	v_dual_mov_b32 v3, 0 :: v_dual_mov_b32 v2, v1
	v_dual_mov_b32 v4, 0 :: v_dual_mov_b32 v1, v0
.LBB34_4:
	s_load_b64 s[0:1], s[0:1], 0x0
	v_lshl_or_b32 v5, s15, 8, v0
	v_mov_b32_e32 v6, 0
	s_delay_alu instid0(VALU_DEP_1) | instskip(SKIP_1) | instid1(VALU_DEP_1)
	v_lshlrev_b64 v[5:6], 4, v[5:6]
	s_waitcnt lgkmcnt(0)
	v_add_co_u32 v5, vcc_lo, s0, v5
	s_delay_alu instid0(VALU_DEP_2)
	v_add_co_ci_u32_e32 v6, vcc_lo, s1, v6, vcc_lo
	global_store_b128 v[5:6], v[1:4], off
	s_nop 0
	s_sendmsg sendmsg(MSG_DEALLOC_VGPRS)
	s_endpgm
	.section	.rodata,"a",@progbits
	.p2align	6, 0x0
	.amdhsa_kernel _Z20warp_exchange_kernelILj256ELj1ELj16EN6common18BlockedToStripedOpEnEvPT3_j
		.amdhsa_group_segment_fixed_size 4096
		.amdhsa_private_segment_fixed_size 0
		.amdhsa_kernarg_size 12
		.amdhsa_user_sgpr_count 15
		.amdhsa_user_sgpr_dispatch_ptr 0
		.amdhsa_user_sgpr_queue_ptr 0
		.amdhsa_user_sgpr_kernarg_segment_ptr 1
		.amdhsa_user_sgpr_dispatch_id 0
		.amdhsa_user_sgpr_private_segment_size 0
		.amdhsa_wavefront_size32 1
		.amdhsa_uses_dynamic_stack 0
		.amdhsa_enable_private_segment 0
		.amdhsa_system_sgpr_workgroup_id_x 1
		.amdhsa_system_sgpr_workgroup_id_y 0
		.amdhsa_system_sgpr_workgroup_id_z 0
		.amdhsa_system_sgpr_workgroup_info 0
		.amdhsa_system_vgpr_workitem_id 0
		.amdhsa_next_free_vgpr 7
		.amdhsa_next_free_sgpr 16
		.amdhsa_reserve_vcc 1
		.amdhsa_float_round_mode_32 0
		.amdhsa_float_round_mode_16_64 0
		.amdhsa_float_denorm_mode_32 3
		.amdhsa_float_denorm_mode_16_64 3
		.amdhsa_dx10_clamp 1
		.amdhsa_ieee_mode 1
		.amdhsa_fp16_overflow 0
		.amdhsa_workgroup_processor_mode 1
		.amdhsa_memory_ordered 1
		.amdhsa_forward_progress 0
		.amdhsa_shared_vgpr_count 0
		.amdhsa_exception_fp_ieee_invalid_op 0
		.amdhsa_exception_fp_denorm_src 0
		.amdhsa_exception_fp_ieee_div_zero 0
		.amdhsa_exception_fp_ieee_overflow 0
		.amdhsa_exception_fp_ieee_underflow 0
		.amdhsa_exception_fp_ieee_inexact 0
		.amdhsa_exception_int_div_zero 0
	.end_amdhsa_kernel
	.section	.text._Z20warp_exchange_kernelILj256ELj1ELj16EN6common18BlockedToStripedOpEnEvPT3_j,"axG",@progbits,_Z20warp_exchange_kernelILj256ELj1ELj16EN6common18BlockedToStripedOpEnEvPT3_j,comdat
.Lfunc_end34:
	.size	_Z20warp_exchange_kernelILj256ELj1ELj16EN6common18BlockedToStripedOpEnEvPT3_j, .Lfunc_end34-_Z20warp_exchange_kernelILj256ELj1ELj16EN6common18BlockedToStripedOpEnEvPT3_j
                                        ; -- End function
	.section	.AMDGPU.csdata,"",@progbits
; Kernel info:
; codeLenInByte = 212
; NumSgprs: 18
; NumVgprs: 7
; ScratchSize: 0
; MemoryBound: 0
; FloatMode: 240
; IeeeMode: 1
; LDSByteSize: 4096 bytes/workgroup (compile time only)
; SGPRBlocks: 2
; VGPRBlocks: 0
; NumSGPRsForWavesPerEU: 18
; NumVGPRsForWavesPerEU: 7
; Occupancy: 16
; WaveLimiterHint : 0
; COMPUTE_PGM_RSRC2:SCRATCH_EN: 0
; COMPUTE_PGM_RSRC2:USER_SGPR: 15
; COMPUTE_PGM_RSRC2:TRAP_HANDLER: 0
; COMPUTE_PGM_RSRC2:TGID_X_EN: 1
; COMPUTE_PGM_RSRC2:TGID_Y_EN: 0
; COMPUTE_PGM_RSRC2:TGID_Z_EN: 0
; COMPUTE_PGM_RSRC2:TIDIG_COMP_CNT: 0
	.section	.text._Z20warp_exchange_kernelILj256ELj1ELj32EN6common18BlockedToStripedOpEnEvPT3_j,"axG",@progbits,_Z20warp_exchange_kernelILj256ELj1ELj32EN6common18BlockedToStripedOpEnEvPT3_j,comdat
	.protected	_Z20warp_exchange_kernelILj256ELj1ELj32EN6common18BlockedToStripedOpEnEvPT3_j ; -- Begin function _Z20warp_exchange_kernelILj256ELj1ELj32EN6common18BlockedToStripedOpEnEvPT3_j
	.globl	_Z20warp_exchange_kernelILj256ELj1ELj32EN6common18BlockedToStripedOpEnEvPT3_j
	.p2align	8
	.type	_Z20warp_exchange_kernelILj256ELj1ELj32EN6common18BlockedToStripedOpEnEvPT3_j,@function
_Z20warp_exchange_kernelILj256ELj1ELj32EN6common18BlockedToStripedOpEnEvPT3_j: ; @_Z20warp_exchange_kernelILj256ELj1ELj32EN6common18BlockedToStripedOpEnEvPT3_j
; %bb.0:
	s_load_b32 s2, s[0:1], 0x8
	v_mov_b32_e32 v1, 0
	s_waitcnt lgkmcnt(0)
	s_cmp_eq_u32 s2, 0
	s_cbranch_scc1 .LBB35_3
; %bb.1:
	v_mbcnt_lo_u32_b32 v2, -1, 0
	v_lshlrev_b32_e32 v5, 4, v0
	v_mov_b32_e32 v3, 0
	v_mov_b32_e32 v4, 0
	s_delay_alu instid0(VALU_DEP_4) | instskip(NEXT) | instid1(VALU_DEP_1)
	v_lshlrev_b32_e32 v2, 4, v2
	v_and_or_b32 v5, 0xe00, v5, v2
	v_mov_b32_e32 v2, v1
	v_mov_b32_e32 v1, v0
.LBB35_2:                               ; =>This Inner Loop Header: Depth=1
	s_waitcnt lgkmcnt(0)
	ds_store_b128 v5, v[1:4]
	; wave barrier
	ds_load_b128 v[1:4], v5
	s_add_i32 s2, s2, -1
	s_delay_alu instid0(SALU_CYCLE_1)
	s_cmp_lg_u32 s2, 0
	; wave barrier
	s_cbranch_scc1 .LBB35_2
	s_branch .LBB35_4
.LBB35_3:
	s_delay_alu instid0(VALU_DEP_1)
	v_dual_mov_b32 v3, 0 :: v_dual_mov_b32 v2, v1
	v_dual_mov_b32 v4, 0 :: v_dual_mov_b32 v1, v0
.LBB35_4:
	s_load_b64 s[0:1], s[0:1], 0x0
	v_lshl_or_b32 v5, s15, 8, v0
	v_mov_b32_e32 v6, 0
	s_delay_alu instid0(VALU_DEP_1) | instskip(SKIP_1) | instid1(VALU_DEP_1)
	v_lshlrev_b64 v[5:6], 4, v[5:6]
	s_waitcnt lgkmcnt(0)
	v_add_co_u32 v5, vcc_lo, s0, v5
	s_delay_alu instid0(VALU_DEP_2)
	v_add_co_ci_u32_e32 v6, vcc_lo, s1, v6, vcc_lo
	global_store_b128 v[5:6], v[1:4], off
	s_nop 0
	s_sendmsg sendmsg(MSG_DEALLOC_VGPRS)
	s_endpgm
	.section	.rodata,"a",@progbits
	.p2align	6, 0x0
	.amdhsa_kernel _Z20warp_exchange_kernelILj256ELj1ELj32EN6common18BlockedToStripedOpEnEvPT3_j
		.amdhsa_group_segment_fixed_size 4096
		.amdhsa_private_segment_fixed_size 0
		.amdhsa_kernarg_size 12
		.amdhsa_user_sgpr_count 15
		.amdhsa_user_sgpr_dispatch_ptr 0
		.amdhsa_user_sgpr_queue_ptr 0
		.amdhsa_user_sgpr_kernarg_segment_ptr 1
		.amdhsa_user_sgpr_dispatch_id 0
		.amdhsa_user_sgpr_private_segment_size 0
		.amdhsa_wavefront_size32 1
		.amdhsa_uses_dynamic_stack 0
		.amdhsa_enable_private_segment 0
		.amdhsa_system_sgpr_workgroup_id_x 1
		.amdhsa_system_sgpr_workgroup_id_y 0
		.amdhsa_system_sgpr_workgroup_id_z 0
		.amdhsa_system_sgpr_workgroup_info 0
		.amdhsa_system_vgpr_workitem_id 0
		.amdhsa_next_free_vgpr 7
		.amdhsa_next_free_sgpr 16
		.amdhsa_reserve_vcc 1
		.amdhsa_float_round_mode_32 0
		.amdhsa_float_round_mode_16_64 0
		.amdhsa_float_denorm_mode_32 3
		.amdhsa_float_denorm_mode_16_64 3
		.amdhsa_dx10_clamp 1
		.amdhsa_ieee_mode 1
		.amdhsa_fp16_overflow 0
		.amdhsa_workgroup_processor_mode 1
		.amdhsa_memory_ordered 1
		.amdhsa_forward_progress 0
		.amdhsa_shared_vgpr_count 0
		.amdhsa_exception_fp_ieee_invalid_op 0
		.amdhsa_exception_fp_denorm_src 0
		.amdhsa_exception_fp_ieee_div_zero 0
		.amdhsa_exception_fp_ieee_overflow 0
		.amdhsa_exception_fp_ieee_underflow 0
		.amdhsa_exception_fp_ieee_inexact 0
		.amdhsa_exception_int_div_zero 0
	.end_amdhsa_kernel
	.section	.text._Z20warp_exchange_kernelILj256ELj1ELj32EN6common18BlockedToStripedOpEnEvPT3_j,"axG",@progbits,_Z20warp_exchange_kernelILj256ELj1ELj32EN6common18BlockedToStripedOpEnEvPT3_j,comdat
.Lfunc_end35:
	.size	_Z20warp_exchange_kernelILj256ELj1ELj32EN6common18BlockedToStripedOpEnEvPT3_j, .Lfunc_end35-_Z20warp_exchange_kernelILj256ELj1ELj32EN6common18BlockedToStripedOpEnEvPT3_j
                                        ; -- End function
	.section	.AMDGPU.csdata,"",@progbits
; Kernel info:
; codeLenInByte = 204
; NumSgprs: 18
; NumVgprs: 7
; ScratchSize: 0
; MemoryBound: 0
; FloatMode: 240
; IeeeMode: 1
; LDSByteSize: 4096 bytes/workgroup (compile time only)
; SGPRBlocks: 2
; VGPRBlocks: 0
; NumSGPRsForWavesPerEU: 18
; NumVGPRsForWavesPerEU: 7
; Occupancy: 16
; WaveLimiterHint : 0
; COMPUTE_PGM_RSRC2:SCRATCH_EN: 0
; COMPUTE_PGM_RSRC2:USER_SGPR: 15
; COMPUTE_PGM_RSRC2:TRAP_HANDLER: 0
; COMPUTE_PGM_RSRC2:TGID_X_EN: 1
; COMPUTE_PGM_RSRC2:TGID_Y_EN: 0
; COMPUTE_PGM_RSRC2:TGID_Z_EN: 0
; COMPUTE_PGM_RSRC2:TIDIG_COMP_CNT: 0
	.section	.text._Z20warp_exchange_kernelILj256ELj4ELj16EN6common18BlockedToStripedOpEnEvPT3_j,"axG",@progbits,_Z20warp_exchange_kernelILj256ELj4ELj16EN6common18BlockedToStripedOpEnEvPT3_j,comdat
	.protected	_Z20warp_exchange_kernelILj256ELj4ELj16EN6common18BlockedToStripedOpEnEvPT3_j ; -- Begin function _Z20warp_exchange_kernelILj256ELj4ELj16EN6common18BlockedToStripedOpEnEvPT3_j
	.globl	_Z20warp_exchange_kernelILj256ELj4ELj16EN6common18BlockedToStripedOpEnEvPT3_j
	.p2align	8
	.type	_Z20warp_exchange_kernelILj256ELj4ELj16EN6common18BlockedToStripedOpEnEvPT3_j,@function
_Z20warp_exchange_kernelILj256ELj4ELj16EN6common18BlockedToStripedOpEnEvPT3_j: ; @_Z20warp_exchange_kernelILj256ELj4ELj16EN6common18BlockedToStripedOpEnEvPT3_j
; %bb.0:
	s_load_b32 s2, s[0:1], 0x8
	v_lshlrev_b32_e32 v17, 2, v0
	s_delay_alu instid0(VALU_DEP_1)
	v_or_b32_e32 v9, 1, v17
	v_or_b32_e32 v5, 2, v17
	;; [unrolled: 1-line block ×3, first 2 shown]
	s_waitcnt lgkmcnt(0)
	s_cmp_eq_u32 s2, 0
	s_cbranch_scc1 .LBB36_3
; %bb.1:
	v_mbcnt_lo_u32_b32 v2, -1, 0
	v_dual_mov_b32 v15, 0 :: v_dual_lshlrev_b32 v0, 6, v0
	v_mov_b32_e32 v3, 0
	s_delay_alu instid0(VALU_DEP_3) | instskip(NEXT) | instid1(VALU_DEP_1)
	v_dual_mov_b32 v2, 0 :: v_dual_and_b32 v7, 15, v2
	v_lshlrev_b32_e32 v8, 6, v7
	v_mul_i32_i24_e32 v13, 0xffffffd0, v7
	s_delay_alu instid0(VALU_DEP_3) | instskip(SKIP_1) | instid1(VALU_DEP_4)
	v_mov_b32_e32 v18, v2
	v_mov_b32_e32 v10, v2
	v_and_or_b32 v0, 0x3c00, v0, v8
	s_delay_alu instid0(VALU_DEP_1) | instskip(NEXT) | instid1(VALU_DEP_1)
	v_dual_mov_b32 v4, 0 :: v_dual_add_nc_u32 v19, v0, v13
	v_mov_b32_e32 v8, v4
	v_dual_mov_b32 v12, v4 :: v_dual_mov_b32 v13, v17
	v_dual_mov_b32 v16, 0 :: v_dual_mov_b32 v7, v3
	;; [unrolled: 1-line block ×3, first 2 shown]
	v_mov_b32_e32 v14, v18
	.p2align	6
.LBB36_2:                               ; =>This Inner Loop Header: Depth=1
	s_waitcnt lgkmcnt(3)
	ds_store_b128 v0, v[13:16]
	s_waitcnt lgkmcnt(3)
	ds_store_b128 v0, v[9:12] offset:16
	s_waitcnt lgkmcnt(3)
	ds_store_b128 v0, v[5:8] offset:32
	;; [unrolled: 2-line block ×3, first 2 shown]
	; wave barrier
	ds_load_b128 v[13:16], v19
	ds_load_b128 v[9:12], v19 offset:256
	ds_load_b128 v[5:8], v19 offset:512
	;; [unrolled: 1-line block ×3, first 2 shown]
	s_add_i32 s2, s2, -1
	s_delay_alu instid0(SALU_CYCLE_1)
	s_cmp_lg_u32 s2, 0
	; wave barrier
	s_cbranch_scc1 .LBB36_2
	s_branch .LBB36_4
.LBB36_3:
	v_dual_mov_b32 v18, 0 :: v_dual_mov_b32 v15, 0
	v_dual_mov_b32 v16, 0 :: v_dual_mov_b32 v3, 0
	;; [unrolled: 1-line block ×3, first 2 shown]
	s_delay_alu instid0(VALU_DEP_3)
	v_dual_mov_b32 v10, v18 :: v_dual_mov_b32 v11, v15
	v_dual_mov_b32 v6, v18 :: v_dual_mov_b32 v7, v15
	v_mov_b32_e32 v2, v18
	v_mov_b32_e32 v14, v18
	;; [unrolled: 1-line block ×4, first 2 shown]
.LBB36_4:
	s_load_b64 s[0:1], s[0:1], 0x0
	v_lshl_or_b32 v17, s15, 10, v17
	v_mov_b32_e32 v18, 0
	s_delay_alu instid0(VALU_DEP_1) | instskip(SKIP_1) | instid1(VALU_DEP_1)
	v_lshlrev_b64 v[17:18], 4, v[17:18]
	s_waitcnt lgkmcnt(0)
	v_add_co_u32 v17, vcc_lo, s0, v17
	s_delay_alu instid0(VALU_DEP_2)
	v_add_co_ci_u32_e32 v18, vcc_lo, s1, v18, vcc_lo
	s_clause 0x3
	global_store_b128 v[17:18], v[13:16], off
	global_store_b128 v[17:18], v[9:12], off offset:16
	global_store_b128 v[17:18], v[5:8], off offset:32
	;; [unrolled: 1-line block ×3, first 2 shown]
	s_nop 0
	s_sendmsg sendmsg(MSG_DEALLOC_VGPRS)
	s_endpgm
	.section	.rodata,"a",@progbits
	.p2align	6, 0x0
	.amdhsa_kernel _Z20warp_exchange_kernelILj256ELj4ELj16EN6common18BlockedToStripedOpEnEvPT3_j
		.amdhsa_group_segment_fixed_size 16384
		.amdhsa_private_segment_fixed_size 0
		.amdhsa_kernarg_size 12
		.amdhsa_user_sgpr_count 15
		.amdhsa_user_sgpr_dispatch_ptr 0
		.amdhsa_user_sgpr_queue_ptr 0
		.amdhsa_user_sgpr_kernarg_segment_ptr 1
		.amdhsa_user_sgpr_dispatch_id 0
		.amdhsa_user_sgpr_private_segment_size 0
		.amdhsa_wavefront_size32 1
		.amdhsa_uses_dynamic_stack 0
		.amdhsa_enable_private_segment 0
		.amdhsa_system_sgpr_workgroup_id_x 1
		.amdhsa_system_sgpr_workgroup_id_y 0
		.amdhsa_system_sgpr_workgroup_id_z 0
		.amdhsa_system_sgpr_workgroup_info 0
		.amdhsa_system_vgpr_workitem_id 0
		.amdhsa_next_free_vgpr 20
		.amdhsa_next_free_sgpr 16
		.amdhsa_reserve_vcc 1
		.amdhsa_float_round_mode_32 0
		.amdhsa_float_round_mode_16_64 0
		.amdhsa_float_denorm_mode_32 3
		.amdhsa_float_denorm_mode_16_64 3
		.amdhsa_dx10_clamp 1
		.amdhsa_ieee_mode 1
		.amdhsa_fp16_overflow 0
		.amdhsa_workgroup_processor_mode 1
		.amdhsa_memory_ordered 1
		.amdhsa_forward_progress 0
		.amdhsa_shared_vgpr_count 0
		.amdhsa_exception_fp_ieee_invalid_op 0
		.amdhsa_exception_fp_denorm_src 0
		.amdhsa_exception_fp_ieee_div_zero 0
		.amdhsa_exception_fp_ieee_overflow 0
		.amdhsa_exception_fp_ieee_underflow 0
		.amdhsa_exception_fp_ieee_inexact 0
		.amdhsa_exception_int_div_zero 0
	.end_amdhsa_kernel
	.section	.text._Z20warp_exchange_kernelILj256ELj4ELj16EN6common18BlockedToStripedOpEnEvPT3_j,"axG",@progbits,_Z20warp_exchange_kernelILj256ELj4ELj16EN6common18BlockedToStripedOpEnEvPT3_j,comdat
.Lfunc_end36:
	.size	_Z20warp_exchange_kernelILj256ELj4ELj16EN6common18BlockedToStripedOpEnEvPT3_j, .Lfunc_end36-_Z20warp_exchange_kernelILj256ELj4ELj16EN6common18BlockedToStripedOpEnEvPT3_j
                                        ; -- End function
	.section	.AMDGPU.csdata,"",@progbits
; Kernel info:
; codeLenInByte = 412
; NumSgprs: 18
; NumVgprs: 20
; ScratchSize: 0
; MemoryBound: 0
; FloatMode: 240
; IeeeMode: 1
; LDSByteSize: 16384 bytes/workgroup (compile time only)
; SGPRBlocks: 2
; VGPRBlocks: 2
; NumSGPRsForWavesPerEU: 18
; NumVGPRsForWavesPerEU: 20
; Occupancy: 16
; WaveLimiterHint : 0
; COMPUTE_PGM_RSRC2:SCRATCH_EN: 0
; COMPUTE_PGM_RSRC2:USER_SGPR: 15
; COMPUTE_PGM_RSRC2:TRAP_HANDLER: 0
; COMPUTE_PGM_RSRC2:TGID_X_EN: 1
; COMPUTE_PGM_RSRC2:TGID_Y_EN: 0
; COMPUTE_PGM_RSRC2:TGID_Z_EN: 0
; COMPUTE_PGM_RSRC2:TIDIG_COMP_CNT: 0
	.section	.text._Z20warp_exchange_kernelILj256ELj4ELj32EN6common18BlockedToStripedOpEnEvPT3_j,"axG",@progbits,_Z20warp_exchange_kernelILj256ELj4ELj32EN6common18BlockedToStripedOpEnEvPT3_j,comdat
	.protected	_Z20warp_exchange_kernelILj256ELj4ELj32EN6common18BlockedToStripedOpEnEvPT3_j ; -- Begin function _Z20warp_exchange_kernelILj256ELj4ELj32EN6common18BlockedToStripedOpEnEvPT3_j
	.globl	_Z20warp_exchange_kernelILj256ELj4ELj32EN6common18BlockedToStripedOpEnEvPT3_j
	.p2align	8
	.type	_Z20warp_exchange_kernelILj256ELj4ELj32EN6common18BlockedToStripedOpEnEvPT3_j,@function
_Z20warp_exchange_kernelILj256ELj4ELj32EN6common18BlockedToStripedOpEnEvPT3_j: ; @_Z20warp_exchange_kernelILj256ELj4ELj32EN6common18BlockedToStripedOpEnEvPT3_j
; %bb.0:
	s_load_b32 s2, s[0:1], 0x8
	v_lshlrev_b32_e32 v17, 2, v0
	s_delay_alu instid0(VALU_DEP_1)
	v_or_b32_e32 v9, 1, v17
	v_or_b32_e32 v5, 2, v17
	;; [unrolled: 1-line block ×3, first 2 shown]
	s_waitcnt lgkmcnt(0)
	s_cmp_eq_u32 s2, 0
	s_cbranch_scc1 .LBB37_3
; %bb.1:
	v_dual_mov_b32 v2, 0 :: v_dual_mov_b32 v3, 0
	v_dual_mov_b32 v15, 0 :: v_dual_lshlrev_b32 v0, 6, v0
	v_mbcnt_lo_u32_b32 v7, -1, 0
	s_delay_alu instid0(VALU_DEP_3) | instskip(SKIP_1) | instid1(VALU_DEP_4)
	v_mov_b32_e32 v18, v2
	v_dual_mov_b32 v4, 0 :: v_dual_mov_b32 v13, v17
	v_and_b32_e32 v8, 0x3800, v0
	v_mov_b32_e32 v16, 0
	v_mov_b32_e32 v6, v2
	s_delay_alu instid0(VALU_DEP_4) | instskip(NEXT) | instid1(VALU_DEP_4)
	v_dual_mov_b32 v12, v4 :: v_dual_mov_b32 v11, v3
	v_lshl_or_b32 v0, v7, 6, v8
	v_lshl_or_b32 v19, v7, 4, v8
	v_dual_mov_b32 v8, v4 :: v_dual_mov_b32 v7, v3
	v_mov_b32_e32 v10, v2
	v_mov_b32_e32 v14, v18
	.p2align	6
.LBB37_2:                               ; =>This Inner Loop Header: Depth=1
	s_waitcnt lgkmcnt(3)
	ds_store_b128 v0, v[13:16]
	s_waitcnt lgkmcnt(3)
	ds_store_b128 v0, v[9:12] offset:16
	s_waitcnt lgkmcnt(3)
	ds_store_b128 v0, v[5:8] offset:32
	;; [unrolled: 2-line block ×3, first 2 shown]
	; wave barrier
	ds_load_b128 v[13:16], v19
	ds_load_b128 v[9:12], v19 offset:512
	ds_load_b128 v[5:8], v19 offset:1024
	;; [unrolled: 1-line block ×3, first 2 shown]
	s_add_i32 s2, s2, -1
	s_delay_alu instid0(SALU_CYCLE_1)
	s_cmp_lg_u32 s2, 0
	; wave barrier
	s_cbranch_scc1 .LBB37_2
	s_branch .LBB37_4
.LBB37_3:
	v_dual_mov_b32 v18, 0 :: v_dual_mov_b32 v15, 0
	v_dual_mov_b32 v16, 0 :: v_dual_mov_b32 v3, 0
	v_dual_mov_b32 v4, 0 :: v_dual_mov_b32 v13, v17
	s_delay_alu instid0(VALU_DEP_3)
	v_dual_mov_b32 v10, v18 :: v_dual_mov_b32 v11, v15
	v_dual_mov_b32 v6, v18 :: v_dual_mov_b32 v7, v15
	v_mov_b32_e32 v2, v18
	v_mov_b32_e32 v14, v18
	;; [unrolled: 1-line block ×4, first 2 shown]
.LBB37_4:
	s_load_b64 s[0:1], s[0:1], 0x0
	v_lshl_or_b32 v17, s15, 10, v17
	v_mov_b32_e32 v18, 0
	s_delay_alu instid0(VALU_DEP_1) | instskip(SKIP_1) | instid1(VALU_DEP_1)
	v_lshlrev_b64 v[17:18], 4, v[17:18]
	s_waitcnt lgkmcnt(0)
	v_add_co_u32 v17, vcc_lo, s0, v17
	s_delay_alu instid0(VALU_DEP_2)
	v_add_co_ci_u32_e32 v18, vcc_lo, s1, v18, vcc_lo
	s_clause 0x3
	global_store_b128 v[17:18], v[13:16], off
	global_store_b128 v[17:18], v[9:12], off offset:16
	global_store_b128 v[17:18], v[5:8], off offset:32
	;; [unrolled: 1-line block ×3, first 2 shown]
	s_nop 0
	s_sendmsg sendmsg(MSG_DEALLOC_VGPRS)
	s_endpgm
	.section	.rodata,"a",@progbits
	.p2align	6, 0x0
	.amdhsa_kernel _Z20warp_exchange_kernelILj256ELj4ELj32EN6common18BlockedToStripedOpEnEvPT3_j
		.amdhsa_group_segment_fixed_size 16384
		.amdhsa_private_segment_fixed_size 0
		.amdhsa_kernarg_size 12
		.amdhsa_user_sgpr_count 15
		.amdhsa_user_sgpr_dispatch_ptr 0
		.amdhsa_user_sgpr_queue_ptr 0
		.amdhsa_user_sgpr_kernarg_segment_ptr 1
		.amdhsa_user_sgpr_dispatch_id 0
		.amdhsa_user_sgpr_private_segment_size 0
		.amdhsa_wavefront_size32 1
		.amdhsa_uses_dynamic_stack 0
		.amdhsa_enable_private_segment 0
		.amdhsa_system_sgpr_workgroup_id_x 1
		.amdhsa_system_sgpr_workgroup_id_y 0
		.amdhsa_system_sgpr_workgroup_id_z 0
		.amdhsa_system_sgpr_workgroup_info 0
		.amdhsa_system_vgpr_workitem_id 0
		.amdhsa_next_free_vgpr 20
		.amdhsa_next_free_sgpr 16
		.amdhsa_reserve_vcc 1
		.amdhsa_float_round_mode_32 0
		.amdhsa_float_round_mode_16_64 0
		.amdhsa_float_denorm_mode_32 3
		.amdhsa_float_denorm_mode_16_64 3
		.amdhsa_dx10_clamp 1
		.amdhsa_ieee_mode 1
		.amdhsa_fp16_overflow 0
		.amdhsa_workgroup_processor_mode 1
		.amdhsa_memory_ordered 1
		.amdhsa_forward_progress 0
		.amdhsa_shared_vgpr_count 0
		.amdhsa_exception_fp_ieee_invalid_op 0
		.amdhsa_exception_fp_denorm_src 0
		.amdhsa_exception_fp_ieee_div_zero 0
		.amdhsa_exception_fp_ieee_overflow 0
		.amdhsa_exception_fp_ieee_underflow 0
		.amdhsa_exception_fp_ieee_inexact 0
		.amdhsa_exception_int_div_zero 0
	.end_amdhsa_kernel
	.section	.text._Z20warp_exchange_kernelILj256ELj4ELj32EN6common18BlockedToStripedOpEnEvPT3_j,"axG",@progbits,_Z20warp_exchange_kernelILj256ELj4ELj32EN6common18BlockedToStripedOpEnEvPT3_j,comdat
.Lfunc_end37:
	.size	_Z20warp_exchange_kernelILj256ELj4ELj32EN6common18BlockedToStripedOpEnEvPT3_j, .Lfunc_end37-_Z20warp_exchange_kernelILj256ELj4ELj32EN6common18BlockedToStripedOpEnEvPT3_j
                                        ; -- End function
	.section	.AMDGPU.csdata,"",@progbits
; Kernel info:
; codeLenInByte = 400
; NumSgprs: 18
; NumVgprs: 20
; ScratchSize: 0
; MemoryBound: 0
; FloatMode: 240
; IeeeMode: 1
; LDSByteSize: 16384 bytes/workgroup (compile time only)
; SGPRBlocks: 2
; VGPRBlocks: 2
; NumSGPRsForWavesPerEU: 18
; NumVGPRsForWavesPerEU: 20
; Occupancy: 16
; WaveLimiterHint : 0
; COMPUTE_PGM_RSRC2:SCRATCH_EN: 0
; COMPUTE_PGM_RSRC2:USER_SGPR: 15
; COMPUTE_PGM_RSRC2:TRAP_HANDLER: 0
; COMPUTE_PGM_RSRC2:TGID_X_EN: 1
; COMPUTE_PGM_RSRC2:TGID_Y_EN: 0
; COMPUTE_PGM_RSRC2:TGID_Z_EN: 0
; COMPUTE_PGM_RSRC2:TIDIG_COMP_CNT: 0
	.section	.text._Z20warp_exchange_kernelILj256ELj16ELj16EN6common18BlockedToStripedOpEnEvPT3_j,"axG",@progbits,_Z20warp_exchange_kernelILj256ELj16ELj16EN6common18BlockedToStripedOpEnEvPT3_j,comdat
	.protected	_Z20warp_exchange_kernelILj256ELj16ELj16EN6common18BlockedToStripedOpEnEvPT3_j ; -- Begin function _Z20warp_exchange_kernelILj256ELj16ELj16EN6common18BlockedToStripedOpEnEvPT3_j
	.globl	_Z20warp_exchange_kernelILj256ELj16ELj16EN6common18BlockedToStripedOpEnEvPT3_j
	.p2align	8
	.type	_Z20warp_exchange_kernelILj256ELj16ELj16EN6common18BlockedToStripedOpEnEvPT3_j,@function
_Z20warp_exchange_kernelILj256ELj16ELj16EN6common18BlockedToStripedOpEnEvPT3_j: ; @_Z20warp_exchange_kernelILj256ELj16ELj16EN6common18BlockedToStripedOpEnEvPT3_j
; %bb.0:
	s_load_b32 s2, s[0:1], 0x8
	v_lshlrev_b32_e32 v65, 4, v0
	s_delay_alu instid0(VALU_DEP_1)
	v_or_b32_e32 v57, 1, v65
	v_or_b32_e32 v53, 2, v65
	;; [unrolled: 1-line block ×15, first 2 shown]
	s_waitcnt lgkmcnt(0)
	s_cmp_eq_u32 s2, 0
	s_cbranch_scc1 .LBB38_3
; %bb.1:
	v_mbcnt_lo_u32_b32 v7, -1, 0
	v_dual_mov_b32 v2, 0 :: v_dual_mov_b32 v63, 0
	v_dual_mov_b32 v64, 0 :: v_dual_mov_b32 v3, 0
	s_delay_alu instid0(VALU_DEP_3) | instskip(SKIP_1) | instid1(VALU_DEP_4)
	v_dual_mov_b32 v4, 0 :: v_dual_and_b32 v7, 15, v7
	v_lshlrev_b32_e32 v0, 8, v0
	v_mov_b32_e32 v66, v2
	v_dual_mov_b32 v58, v2 :: v_dual_mov_b32 v61, v65
	s_delay_alu instid0(VALU_DEP_4)
	v_lshlrev_b32_e32 v8, 8, v7
	v_mov_b32_e32 v32, v4
	v_dual_mov_b32 v36, v4 :: v_dual_mov_b32 v35, v3
	v_mul_i32_i24_e32 v7, 0xffffff10, v7
	v_mov_b32_e32 v31, v3
	v_and_or_b32 v0, 0xf000, v0, v8
	v_mov_b32_e32 v6, v2
	v_mov_b32_e32 v12, v4
	;; [unrolled: 1-line block ×4, first 2 shown]
	v_add_nc_u32_e32 v67, v0, v7
	v_mov_b32_e32 v8, v4
	v_mov_b32_e32 v24, v4
	;; [unrolled: 1-line block ×9, first 2 shown]
	v_dual_mov_b32 v10, v2 :: v_dual_mov_b32 v7, v3
	v_dual_mov_b32 v14, v2 :: v_dual_mov_b32 v11, v3
	;; [unrolled: 1-line block ×12, first 2 shown]
	v_mov_b32_e32 v62, v66
.LBB38_2:                               ; =>This Inner Loop Header: Depth=1
	s_waitcnt lgkmcnt(15)
	ds_store_b128 v0, v[61:64]
	s_waitcnt lgkmcnt(15)
	ds_store_b128 v0, v[57:60] offset:16
	s_waitcnt lgkmcnt(15)
	ds_store_b128 v0, v[53:56] offset:32
	;; [unrolled: 2-line block ×15, first 2 shown]
	; wave barrier
	ds_load_b128 v[61:64], v67
	ds_load_b128 v[57:60], v67 offset:256
	ds_load_b128 v[53:56], v67 offset:512
	;; [unrolled: 1-line block ×15, first 2 shown]
	s_add_i32 s2, s2, -1
	s_delay_alu instid0(SALU_CYCLE_1)
	s_cmp_lg_u32 s2, 0
	; wave barrier
	s_cbranch_scc1 .LBB38_2
	s_branch .LBB38_4
.LBB38_3:
	v_dual_mov_b32 v66, 0 :: v_dual_mov_b32 v3, 0
	v_dual_mov_b32 v4, 0 :: v_dual_mov_b32 v63, 0
	;; [unrolled: 1-line block ×3, first 2 shown]
	s_delay_alu instid0(VALU_DEP_2)
	v_dual_mov_b32 v58, v66 :: v_dual_mov_b32 v59, v63
	v_dual_mov_b32 v54, v66 :: v_dual_mov_b32 v55, v63
	;; [unrolled: 1-line block ×14, first 2 shown]
	v_mov_b32_e32 v2, v66
	v_mov_b32_e32 v62, v66
	;; [unrolled: 1-line block ×16, first 2 shown]
.LBB38_4:
	s_load_b64 s[0:1], s[0:1], 0x0
	v_lshl_or_b32 v65, s15, 12, v65
	v_mov_b32_e32 v66, 0
	s_delay_alu instid0(VALU_DEP_1) | instskip(SKIP_1) | instid1(VALU_DEP_1)
	v_lshlrev_b64 v[65:66], 4, v[65:66]
	s_waitcnt lgkmcnt(0)
	v_add_co_u32 v65, vcc_lo, s0, v65
	s_delay_alu instid0(VALU_DEP_2)
	v_add_co_ci_u32_e32 v66, vcc_lo, s1, v66, vcc_lo
	s_clause 0xf
	global_store_b128 v[65:66], v[61:64], off
	global_store_b128 v[65:66], v[57:60], off offset:16
	global_store_b128 v[65:66], v[53:56], off offset:32
	;; [unrolled: 1-line block ×15, first 2 shown]
	s_nop 0
	s_sendmsg sendmsg(MSG_DEALLOC_VGPRS)
	s_endpgm
	.section	.rodata,"a",@progbits
	.p2align	6, 0x0
	.amdhsa_kernel _Z20warp_exchange_kernelILj256ELj16ELj16EN6common18BlockedToStripedOpEnEvPT3_j
		.amdhsa_group_segment_fixed_size 65536
		.amdhsa_private_segment_fixed_size 0
		.amdhsa_kernarg_size 12
		.amdhsa_user_sgpr_count 15
		.amdhsa_user_sgpr_dispatch_ptr 0
		.amdhsa_user_sgpr_queue_ptr 0
		.amdhsa_user_sgpr_kernarg_segment_ptr 1
		.amdhsa_user_sgpr_dispatch_id 0
		.amdhsa_user_sgpr_private_segment_size 0
		.amdhsa_wavefront_size32 1
		.amdhsa_uses_dynamic_stack 0
		.amdhsa_enable_private_segment 0
		.amdhsa_system_sgpr_workgroup_id_x 1
		.amdhsa_system_sgpr_workgroup_id_y 0
		.amdhsa_system_sgpr_workgroup_id_z 0
		.amdhsa_system_sgpr_workgroup_info 0
		.amdhsa_system_vgpr_workitem_id 0
		.amdhsa_next_free_vgpr 68
		.amdhsa_next_free_sgpr 16
		.amdhsa_reserve_vcc 1
		.amdhsa_float_round_mode_32 0
		.amdhsa_float_round_mode_16_64 0
		.amdhsa_float_denorm_mode_32 3
		.amdhsa_float_denorm_mode_16_64 3
		.amdhsa_dx10_clamp 1
		.amdhsa_ieee_mode 1
		.amdhsa_fp16_overflow 0
		.amdhsa_workgroup_processor_mode 1
		.amdhsa_memory_ordered 1
		.amdhsa_forward_progress 0
		.amdhsa_shared_vgpr_count 0
		.amdhsa_exception_fp_ieee_invalid_op 0
		.amdhsa_exception_fp_denorm_src 0
		.amdhsa_exception_fp_ieee_div_zero 0
		.amdhsa_exception_fp_ieee_overflow 0
		.amdhsa_exception_fp_ieee_underflow 0
		.amdhsa_exception_fp_ieee_inexact 0
		.amdhsa_exception_int_div_zero 0
	.end_amdhsa_kernel
	.section	.text._Z20warp_exchange_kernelILj256ELj16ELj16EN6common18BlockedToStripedOpEnEvPT3_j,"axG",@progbits,_Z20warp_exchange_kernelILj256ELj16ELj16EN6common18BlockedToStripedOpEnEvPT3_j,comdat
.Lfunc_end38:
	.size	_Z20warp_exchange_kernelILj256ELj16ELj16EN6common18BlockedToStripedOpEnEvPT3_j, .Lfunc_end38-_Z20warp_exchange_kernelILj256ELj16ELj16EN6common18BlockedToStripedOpEnEvPT3_j
                                        ; -- End function
	.section	.AMDGPU.csdata,"",@progbits
; Kernel info:
; codeLenInByte = 1080
; NumSgprs: 18
; NumVgprs: 68
; ScratchSize: 0
; MemoryBound: 1
; FloatMode: 240
; IeeeMode: 1
; LDSByteSize: 65536 bytes/workgroup (compile time only)
; SGPRBlocks: 2
; VGPRBlocks: 8
; NumSGPRsForWavesPerEU: 18
; NumVGPRsForWavesPerEU: 68
; Occupancy: 4
; WaveLimiterHint : 1
; COMPUTE_PGM_RSRC2:SCRATCH_EN: 0
; COMPUTE_PGM_RSRC2:USER_SGPR: 15
; COMPUTE_PGM_RSRC2:TRAP_HANDLER: 0
; COMPUTE_PGM_RSRC2:TGID_X_EN: 1
; COMPUTE_PGM_RSRC2:TGID_Y_EN: 0
; COMPUTE_PGM_RSRC2:TGID_Z_EN: 0
; COMPUTE_PGM_RSRC2:TIDIG_COMP_CNT: 0
	.section	.text._Z20warp_exchange_kernelILj256ELj16ELj32EN6common18BlockedToStripedOpEnEvPT3_j,"axG",@progbits,_Z20warp_exchange_kernelILj256ELj16ELj32EN6common18BlockedToStripedOpEnEvPT3_j,comdat
	.protected	_Z20warp_exchange_kernelILj256ELj16ELj32EN6common18BlockedToStripedOpEnEvPT3_j ; -- Begin function _Z20warp_exchange_kernelILj256ELj16ELj32EN6common18BlockedToStripedOpEnEvPT3_j
	.globl	_Z20warp_exchange_kernelILj256ELj16ELj32EN6common18BlockedToStripedOpEnEvPT3_j
	.p2align	8
	.type	_Z20warp_exchange_kernelILj256ELj16ELj32EN6common18BlockedToStripedOpEnEvPT3_j,@function
_Z20warp_exchange_kernelILj256ELj16ELj32EN6common18BlockedToStripedOpEnEvPT3_j: ; @_Z20warp_exchange_kernelILj256ELj16ELj32EN6common18BlockedToStripedOpEnEvPT3_j
; %bb.0:
	s_load_b32 s2, s[0:1], 0x8
	v_lshlrev_b32_e32 v65, 4, v0
	s_delay_alu instid0(VALU_DEP_1)
	v_or_b32_e32 v57, 1, v65
	v_or_b32_e32 v53, 2, v65
	;; [unrolled: 1-line block ×15, first 2 shown]
	s_waitcnt lgkmcnt(0)
	s_cmp_eq_u32 s2, 0
	s_cbranch_scc1 .LBB39_3
; %bb.1:
	v_lshlrev_b32_e32 v0, 8, v0
	v_dual_mov_b32 v2, 0 :: v_dual_mov_b32 v63, 0
	v_dual_mov_b32 v64, 0 :: v_dual_mov_b32 v3, 0
	s_delay_alu instid0(VALU_DEP_3) | instskip(SKIP_1) | instid1(VALU_DEP_4)
	v_dual_mov_b32 v4, 0 :: v_dual_and_b32 v7, 0xe000, v0
	v_mbcnt_lo_u32_b32 v8, -1, 0
	v_mov_b32_e32 v66, v2
	v_dual_mov_b32 v58, v2 :: v_dual_mov_b32 v61, v65
	s_delay_alu instid0(VALU_DEP_4) | instskip(NEXT) | instid1(VALU_DEP_4)
	v_mov_b32_e32 v12, v4
	v_lshl_or_b32 v0, v8, 8, v7
	v_lshl_or_b32 v67, v8, 4, v7
	v_mov_b32_e32 v8, v4
	v_mov_b32_e32 v16, v4
	;; [unrolled: 1-line block ×13, first 2 shown]
	v_dual_mov_b32 v6, v2 :: v_dual_mov_b32 v7, v3
	v_dual_mov_b32 v10, v2 :: v_dual_mov_b32 v11, v3
	;; [unrolled: 1-line block ×14, first 2 shown]
.LBB39_2:                               ; =>This Inner Loop Header: Depth=1
	s_waitcnt lgkmcnt(15)
	ds_store_b128 v0, v[61:64]
	s_waitcnt lgkmcnt(15)
	ds_store_b128 v0, v[57:60] offset:16
	s_waitcnt lgkmcnt(15)
	ds_store_b128 v0, v[53:56] offset:32
	;; [unrolled: 2-line block ×15, first 2 shown]
	; wave barrier
	ds_load_b128 v[61:64], v67
	ds_load_b128 v[57:60], v67 offset:512
	ds_load_b128 v[53:56], v67 offset:1024
	;; [unrolled: 1-line block ×15, first 2 shown]
	s_add_i32 s2, s2, -1
	s_delay_alu instid0(SALU_CYCLE_1)
	s_cmp_lg_u32 s2, 0
	; wave barrier
	s_cbranch_scc1 .LBB39_2
	s_branch .LBB39_4
.LBB39_3:
	v_dual_mov_b32 v66, 0 :: v_dual_mov_b32 v3, 0
	v_dual_mov_b32 v4, 0 :: v_dual_mov_b32 v63, 0
	;; [unrolled: 1-line block ×3, first 2 shown]
	s_delay_alu instid0(VALU_DEP_2)
	v_dual_mov_b32 v58, v66 :: v_dual_mov_b32 v59, v63
	v_dual_mov_b32 v54, v66 :: v_dual_mov_b32 v55, v63
	;; [unrolled: 1-line block ×14, first 2 shown]
	v_mov_b32_e32 v2, v66
	v_mov_b32_e32 v62, v66
	;; [unrolled: 1-line block ×16, first 2 shown]
.LBB39_4:
	s_load_b64 s[0:1], s[0:1], 0x0
	v_lshl_or_b32 v65, s15, 12, v65
	v_mov_b32_e32 v66, 0
	s_delay_alu instid0(VALU_DEP_1) | instskip(SKIP_1) | instid1(VALU_DEP_1)
	v_lshlrev_b64 v[65:66], 4, v[65:66]
	s_waitcnt lgkmcnt(0)
	v_add_co_u32 v65, vcc_lo, s0, v65
	s_delay_alu instid0(VALU_DEP_2)
	v_add_co_ci_u32_e32 v66, vcc_lo, s1, v66, vcc_lo
	s_clause 0xf
	global_store_b128 v[65:66], v[61:64], off
	global_store_b128 v[65:66], v[57:60], off offset:16
	global_store_b128 v[65:66], v[53:56], off offset:32
	global_store_b128 v[65:66], v[49:52], off offset:48
	global_store_b128 v[65:66], v[45:48], off offset:64
	global_store_b128 v[65:66], v[41:44], off offset:80
	global_store_b128 v[65:66], v[37:40], off offset:96
	global_store_b128 v[65:66], v[33:36], off offset:112
	global_store_b128 v[65:66], v[29:32], off offset:128
	global_store_b128 v[65:66], v[25:28], off offset:144
	global_store_b128 v[65:66], v[21:24], off offset:160
	global_store_b128 v[65:66], v[17:20], off offset:176
	global_store_b128 v[65:66], v[13:16], off offset:192
	global_store_b128 v[65:66], v[9:12], off offset:208
	global_store_b128 v[65:66], v[5:8], off offset:224
	global_store_b128 v[65:66], v[1:4], off offset:240
	s_nop 0
	s_sendmsg sendmsg(MSG_DEALLOC_VGPRS)
	s_endpgm
	.section	.rodata,"a",@progbits
	.p2align	6, 0x0
	.amdhsa_kernel _Z20warp_exchange_kernelILj256ELj16ELj32EN6common18BlockedToStripedOpEnEvPT3_j
		.amdhsa_group_segment_fixed_size 65536
		.amdhsa_private_segment_fixed_size 0
		.amdhsa_kernarg_size 12
		.amdhsa_user_sgpr_count 15
		.amdhsa_user_sgpr_dispatch_ptr 0
		.amdhsa_user_sgpr_queue_ptr 0
		.amdhsa_user_sgpr_kernarg_segment_ptr 1
		.amdhsa_user_sgpr_dispatch_id 0
		.amdhsa_user_sgpr_private_segment_size 0
		.amdhsa_wavefront_size32 1
		.amdhsa_uses_dynamic_stack 0
		.amdhsa_enable_private_segment 0
		.amdhsa_system_sgpr_workgroup_id_x 1
		.amdhsa_system_sgpr_workgroup_id_y 0
		.amdhsa_system_sgpr_workgroup_id_z 0
		.amdhsa_system_sgpr_workgroup_info 0
		.amdhsa_system_vgpr_workitem_id 0
		.amdhsa_next_free_vgpr 68
		.amdhsa_next_free_sgpr 16
		.amdhsa_reserve_vcc 1
		.amdhsa_float_round_mode_32 0
		.amdhsa_float_round_mode_16_64 0
		.amdhsa_float_denorm_mode_32 3
		.amdhsa_float_denorm_mode_16_64 3
		.amdhsa_dx10_clamp 1
		.amdhsa_ieee_mode 1
		.amdhsa_fp16_overflow 0
		.amdhsa_workgroup_processor_mode 1
		.amdhsa_memory_ordered 1
		.amdhsa_forward_progress 0
		.amdhsa_shared_vgpr_count 0
		.amdhsa_exception_fp_ieee_invalid_op 0
		.amdhsa_exception_fp_denorm_src 0
		.amdhsa_exception_fp_ieee_div_zero 0
		.amdhsa_exception_fp_ieee_overflow 0
		.amdhsa_exception_fp_ieee_underflow 0
		.amdhsa_exception_fp_ieee_inexact 0
		.amdhsa_exception_int_div_zero 0
	.end_amdhsa_kernel
	.section	.text._Z20warp_exchange_kernelILj256ELj16ELj32EN6common18BlockedToStripedOpEnEvPT3_j,"axG",@progbits,_Z20warp_exchange_kernelILj256ELj16ELj32EN6common18BlockedToStripedOpEnEvPT3_j,comdat
.Lfunc_end39:
	.size	_Z20warp_exchange_kernelILj256ELj16ELj32EN6common18BlockedToStripedOpEnEvPT3_j, .Lfunc_end39-_Z20warp_exchange_kernelILj256ELj16ELj32EN6common18BlockedToStripedOpEnEvPT3_j
                                        ; -- End function
	.section	.AMDGPU.csdata,"",@progbits
; Kernel info:
; codeLenInByte = 1072
; NumSgprs: 18
; NumVgprs: 68
; ScratchSize: 0
; MemoryBound: 1
; FloatMode: 240
; IeeeMode: 1
; LDSByteSize: 65536 bytes/workgroup (compile time only)
; SGPRBlocks: 2
; VGPRBlocks: 8
; NumSGPRsForWavesPerEU: 18
; NumVGPRsForWavesPerEU: 68
; Occupancy: 4
; WaveLimiterHint : 1
; COMPUTE_PGM_RSRC2:SCRATCH_EN: 0
; COMPUTE_PGM_RSRC2:USER_SGPR: 15
; COMPUTE_PGM_RSRC2:TRAP_HANDLER: 0
; COMPUTE_PGM_RSRC2:TGID_X_EN: 1
; COMPUTE_PGM_RSRC2:TGID_Y_EN: 0
; COMPUTE_PGM_RSRC2:TGID_Z_EN: 0
; COMPUTE_PGM_RSRC2:TIDIG_COMP_CNT: 0
	.section	.text._Z20warp_exchange_kernelILj256ELj1ELj16EN6common18StripedToBlockedOpEnEvPT3_j,"axG",@progbits,_Z20warp_exchange_kernelILj256ELj1ELj16EN6common18StripedToBlockedOpEnEvPT3_j,comdat
	.protected	_Z20warp_exchange_kernelILj256ELj1ELj16EN6common18StripedToBlockedOpEnEvPT3_j ; -- Begin function _Z20warp_exchange_kernelILj256ELj1ELj16EN6common18StripedToBlockedOpEnEvPT3_j
	.globl	_Z20warp_exchange_kernelILj256ELj1ELj16EN6common18StripedToBlockedOpEnEvPT3_j
	.p2align	8
	.type	_Z20warp_exchange_kernelILj256ELj1ELj16EN6common18StripedToBlockedOpEnEvPT3_j,@function
_Z20warp_exchange_kernelILj256ELj1ELj16EN6common18StripedToBlockedOpEnEvPT3_j: ; @_Z20warp_exchange_kernelILj256ELj1ELj16EN6common18StripedToBlockedOpEnEvPT3_j
; %bb.0:
	s_load_b32 s2, s[0:1], 0x8
	v_mov_b32_e32 v1, 0
	s_waitcnt lgkmcnt(0)
	s_cmp_eq_u32 s2, 0
	s_cbranch_scc1 .LBB40_3
; %bb.1:
	v_mbcnt_lo_u32_b32 v2, -1, 0
	v_lshlrev_b32_e32 v5, 4, v0
	v_mov_b32_e32 v3, 0
	v_mov_b32_e32 v4, 0
	s_delay_alu instid0(VALU_DEP_4) | instskip(NEXT) | instid1(VALU_DEP_1)
	v_and_b32_e32 v2, 15, v2
	v_lshlrev_b32_e32 v2, 4, v2
	s_delay_alu instid0(VALU_DEP_1)
	v_and_or_b32 v5, 0xf00, v5, v2
	v_mov_b32_e32 v2, v1
	v_mov_b32_e32 v1, v0
.LBB40_2:                               ; =>This Inner Loop Header: Depth=1
	s_waitcnt lgkmcnt(0)
	ds_store_b128 v5, v[1:4]
	; wave barrier
	ds_load_b128 v[1:4], v5
	s_add_i32 s2, s2, -1
	s_delay_alu instid0(SALU_CYCLE_1)
	s_cmp_lg_u32 s2, 0
	; wave barrier
	s_cbranch_scc1 .LBB40_2
	s_branch .LBB40_4
.LBB40_3:
	s_delay_alu instid0(VALU_DEP_1)
	v_dual_mov_b32 v3, 0 :: v_dual_mov_b32 v2, v1
	v_dual_mov_b32 v4, 0 :: v_dual_mov_b32 v1, v0
.LBB40_4:
	s_load_b64 s[0:1], s[0:1], 0x0
	v_lshl_or_b32 v5, s15, 8, v0
	v_mov_b32_e32 v6, 0
	s_delay_alu instid0(VALU_DEP_1) | instskip(SKIP_1) | instid1(VALU_DEP_1)
	v_lshlrev_b64 v[5:6], 4, v[5:6]
	s_waitcnt lgkmcnt(0)
	v_add_co_u32 v5, vcc_lo, s0, v5
	s_delay_alu instid0(VALU_DEP_2)
	v_add_co_ci_u32_e32 v6, vcc_lo, s1, v6, vcc_lo
	global_store_b128 v[5:6], v[1:4], off
	s_nop 0
	s_sendmsg sendmsg(MSG_DEALLOC_VGPRS)
	s_endpgm
	.section	.rodata,"a",@progbits
	.p2align	6, 0x0
	.amdhsa_kernel _Z20warp_exchange_kernelILj256ELj1ELj16EN6common18StripedToBlockedOpEnEvPT3_j
		.amdhsa_group_segment_fixed_size 4096
		.amdhsa_private_segment_fixed_size 0
		.amdhsa_kernarg_size 12
		.amdhsa_user_sgpr_count 15
		.amdhsa_user_sgpr_dispatch_ptr 0
		.amdhsa_user_sgpr_queue_ptr 0
		.amdhsa_user_sgpr_kernarg_segment_ptr 1
		.amdhsa_user_sgpr_dispatch_id 0
		.amdhsa_user_sgpr_private_segment_size 0
		.amdhsa_wavefront_size32 1
		.amdhsa_uses_dynamic_stack 0
		.amdhsa_enable_private_segment 0
		.amdhsa_system_sgpr_workgroup_id_x 1
		.amdhsa_system_sgpr_workgroup_id_y 0
		.amdhsa_system_sgpr_workgroup_id_z 0
		.amdhsa_system_sgpr_workgroup_info 0
		.amdhsa_system_vgpr_workitem_id 0
		.amdhsa_next_free_vgpr 7
		.amdhsa_next_free_sgpr 16
		.amdhsa_reserve_vcc 1
		.amdhsa_float_round_mode_32 0
		.amdhsa_float_round_mode_16_64 0
		.amdhsa_float_denorm_mode_32 3
		.amdhsa_float_denorm_mode_16_64 3
		.amdhsa_dx10_clamp 1
		.amdhsa_ieee_mode 1
		.amdhsa_fp16_overflow 0
		.amdhsa_workgroup_processor_mode 1
		.amdhsa_memory_ordered 1
		.amdhsa_forward_progress 0
		.amdhsa_shared_vgpr_count 0
		.amdhsa_exception_fp_ieee_invalid_op 0
		.amdhsa_exception_fp_denorm_src 0
		.amdhsa_exception_fp_ieee_div_zero 0
		.amdhsa_exception_fp_ieee_overflow 0
		.amdhsa_exception_fp_ieee_underflow 0
		.amdhsa_exception_fp_ieee_inexact 0
		.amdhsa_exception_int_div_zero 0
	.end_amdhsa_kernel
	.section	.text._Z20warp_exchange_kernelILj256ELj1ELj16EN6common18StripedToBlockedOpEnEvPT3_j,"axG",@progbits,_Z20warp_exchange_kernelILj256ELj1ELj16EN6common18StripedToBlockedOpEnEvPT3_j,comdat
.Lfunc_end40:
	.size	_Z20warp_exchange_kernelILj256ELj1ELj16EN6common18StripedToBlockedOpEnEvPT3_j, .Lfunc_end40-_Z20warp_exchange_kernelILj256ELj1ELj16EN6common18StripedToBlockedOpEnEvPT3_j
                                        ; -- End function
	.section	.AMDGPU.csdata,"",@progbits
; Kernel info:
; codeLenInByte = 212
; NumSgprs: 18
; NumVgprs: 7
; ScratchSize: 0
; MemoryBound: 0
; FloatMode: 240
; IeeeMode: 1
; LDSByteSize: 4096 bytes/workgroup (compile time only)
; SGPRBlocks: 2
; VGPRBlocks: 0
; NumSGPRsForWavesPerEU: 18
; NumVGPRsForWavesPerEU: 7
; Occupancy: 16
; WaveLimiterHint : 0
; COMPUTE_PGM_RSRC2:SCRATCH_EN: 0
; COMPUTE_PGM_RSRC2:USER_SGPR: 15
; COMPUTE_PGM_RSRC2:TRAP_HANDLER: 0
; COMPUTE_PGM_RSRC2:TGID_X_EN: 1
; COMPUTE_PGM_RSRC2:TGID_Y_EN: 0
; COMPUTE_PGM_RSRC2:TGID_Z_EN: 0
; COMPUTE_PGM_RSRC2:TIDIG_COMP_CNT: 0
	.section	.text._Z20warp_exchange_kernelILj256ELj1ELj32EN6common18StripedToBlockedOpEnEvPT3_j,"axG",@progbits,_Z20warp_exchange_kernelILj256ELj1ELj32EN6common18StripedToBlockedOpEnEvPT3_j,comdat
	.protected	_Z20warp_exchange_kernelILj256ELj1ELj32EN6common18StripedToBlockedOpEnEvPT3_j ; -- Begin function _Z20warp_exchange_kernelILj256ELj1ELj32EN6common18StripedToBlockedOpEnEvPT3_j
	.globl	_Z20warp_exchange_kernelILj256ELj1ELj32EN6common18StripedToBlockedOpEnEvPT3_j
	.p2align	8
	.type	_Z20warp_exchange_kernelILj256ELj1ELj32EN6common18StripedToBlockedOpEnEvPT3_j,@function
_Z20warp_exchange_kernelILj256ELj1ELj32EN6common18StripedToBlockedOpEnEvPT3_j: ; @_Z20warp_exchange_kernelILj256ELj1ELj32EN6common18StripedToBlockedOpEnEvPT3_j
; %bb.0:
	s_load_b32 s2, s[0:1], 0x8
	v_mov_b32_e32 v1, 0
	s_waitcnt lgkmcnt(0)
	s_cmp_eq_u32 s2, 0
	s_cbranch_scc1 .LBB41_3
; %bb.1:
	v_mbcnt_lo_u32_b32 v2, -1, 0
	v_lshlrev_b32_e32 v5, 4, v0
	v_mov_b32_e32 v3, 0
	v_mov_b32_e32 v4, 0
	s_delay_alu instid0(VALU_DEP_4) | instskip(NEXT) | instid1(VALU_DEP_1)
	v_lshlrev_b32_e32 v2, 4, v2
	v_and_or_b32 v5, 0xe00, v5, v2
	v_mov_b32_e32 v2, v1
	v_mov_b32_e32 v1, v0
.LBB41_2:                               ; =>This Inner Loop Header: Depth=1
	s_waitcnt lgkmcnt(0)
	ds_store_b128 v5, v[1:4]
	; wave barrier
	ds_load_b128 v[1:4], v5
	s_add_i32 s2, s2, -1
	s_delay_alu instid0(SALU_CYCLE_1)
	s_cmp_lg_u32 s2, 0
	; wave barrier
	s_cbranch_scc1 .LBB41_2
	s_branch .LBB41_4
.LBB41_3:
	s_delay_alu instid0(VALU_DEP_1)
	v_dual_mov_b32 v3, 0 :: v_dual_mov_b32 v2, v1
	v_dual_mov_b32 v4, 0 :: v_dual_mov_b32 v1, v0
.LBB41_4:
	s_load_b64 s[0:1], s[0:1], 0x0
	v_lshl_or_b32 v5, s15, 8, v0
	v_mov_b32_e32 v6, 0
	s_delay_alu instid0(VALU_DEP_1) | instskip(SKIP_1) | instid1(VALU_DEP_1)
	v_lshlrev_b64 v[5:6], 4, v[5:6]
	s_waitcnt lgkmcnt(0)
	v_add_co_u32 v5, vcc_lo, s0, v5
	s_delay_alu instid0(VALU_DEP_2)
	v_add_co_ci_u32_e32 v6, vcc_lo, s1, v6, vcc_lo
	global_store_b128 v[5:6], v[1:4], off
	s_nop 0
	s_sendmsg sendmsg(MSG_DEALLOC_VGPRS)
	s_endpgm
	.section	.rodata,"a",@progbits
	.p2align	6, 0x0
	.amdhsa_kernel _Z20warp_exchange_kernelILj256ELj1ELj32EN6common18StripedToBlockedOpEnEvPT3_j
		.amdhsa_group_segment_fixed_size 4096
		.amdhsa_private_segment_fixed_size 0
		.amdhsa_kernarg_size 12
		.amdhsa_user_sgpr_count 15
		.amdhsa_user_sgpr_dispatch_ptr 0
		.amdhsa_user_sgpr_queue_ptr 0
		.amdhsa_user_sgpr_kernarg_segment_ptr 1
		.amdhsa_user_sgpr_dispatch_id 0
		.amdhsa_user_sgpr_private_segment_size 0
		.amdhsa_wavefront_size32 1
		.amdhsa_uses_dynamic_stack 0
		.amdhsa_enable_private_segment 0
		.amdhsa_system_sgpr_workgroup_id_x 1
		.amdhsa_system_sgpr_workgroup_id_y 0
		.amdhsa_system_sgpr_workgroup_id_z 0
		.amdhsa_system_sgpr_workgroup_info 0
		.amdhsa_system_vgpr_workitem_id 0
		.amdhsa_next_free_vgpr 7
		.amdhsa_next_free_sgpr 16
		.amdhsa_reserve_vcc 1
		.amdhsa_float_round_mode_32 0
		.amdhsa_float_round_mode_16_64 0
		.amdhsa_float_denorm_mode_32 3
		.amdhsa_float_denorm_mode_16_64 3
		.amdhsa_dx10_clamp 1
		.amdhsa_ieee_mode 1
		.amdhsa_fp16_overflow 0
		.amdhsa_workgroup_processor_mode 1
		.amdhsa_memory_ordered 1
		.amdhsa_forward_progress 0
		.amdhsa_shared_vgpr_count 0
		.amdhsa_exception_fp_ieee_invalid_op 0
		.amdhsa_exception_fp_denorm_src 0
		.amdhsa_exception_fp_ieee_div_zero 0
		.amdhsa_exception_fp_ieee_overflow 0
		.amdhsa_exception_fp_ieee_underflow 0
		.amdhsa_exception_fp_ieee_inexact 0
		.amdhsa_exception_int_div_zero 0
	.end_amdhsa_kernel
	.section	.text._Z20warp_exchange_kernelILj256ELj1ELj32EN6common18StripedToBlockedOpEnEvPT3_j,"axG",@progbits,_Z20warp_exchange_kernelILj256ELj1ELj32EN6common18StripedToBlockedOpEnEvPT3_j,comdat
.Lfunc_end41:
	.size	_Z20warp_exchange_kernelILj256ELj1ELj32EN6common18StripedToBlockedOpEnEvPT3_j, .Lfunc_end41-_Z20warp_exchange_kernelILj256ELj1ELj32EN6common18StripedToBlockedOpEnEvPT3_j
                                        ; -- End function
	.section	.AMDGPU.csdata,"",@progbits
; Kernel info:
; codeLenInByte = 204
; NumSgprs: 18
; NumVgprs: 7
; ScratchSize: 0
; MemoryBound: 0
; FloatMode: 240
; IeeeMode: 1
; LDSByteSize: 4096 bytes/workgroup (compile time only)
; SGPRBlocks: 2
; VGPRBlocks: 0
; NumSGPRsForWavesPerEU: 18
; NumVGPRsForWavesPerEU: 7
; Occupancy: 16
; WaveLimiterHint : 0
; COMPUTE_PGM_RSRC2:SCRATCH_EN: 0
; COMPUTE_PGM_RSRC2:USER_SGPR: 15
; COMPUTE_PGM_RSRC2:TRAP_HANDLER: 0
; COMPUTE_PGM_RSRC2:TGID_X_EN: 1
; COMPUTE_PGM_RSRC2:TGID_Y_EN: 0
; COMPUTE_PGM_RSRC2:TGID_Z_EN: 0
; COMPUTE_PGM_RSRC2:TIDIG_COMP_CNT: 0
	.section	.text._Z20warp_exchange_kernelILj256ELj4ELj16EN6common18StripedToBlockedOpEnEvPT3_j,"axG",@progbits,_Z20warp_exchange_kernelILj256ELj4ELj16EN6common18StripedToBlockedOpEnEvPT3_j,comdat
	.protected	_Z20warp_exchange_kernelILj256ELj4ELj16EN6common18StripedToBlockedOpEnEvPT3_j ; -- Begin function _Z20warp_exchange_kernelILj256ELj4ELj16EN6common18StripedToBlockedOpEnEvPT3_j
	.globl	_Z20warp_exchange_kernelILj256ELj4ELj16EN6common18StripedToBlockedOpEnEvPT3_j
	.p2align	8
	.type	_Z20warp_exchange_kernelILj256ELj4ELj16EN6common18StripedToBlockedOpEnEvPT3_j,@function
_Z20warp_exchange_kernelILj256ELj4ELj16EN6common18StripedToBlockedOpEnEvPT3_j: ; @_Z20warp_exchange_kernelILj256ELj4ELj16EN6common18StripedToBlockedOpEnEvPT3_j
; %bb.0:
	s_load_b32 s2, s[0:1], 0x8
	v_lshlrev_b32_e32 v17, 2, v0
	s_delay_alu instid0(VALU_DEP_1)
	v_or_b32_e32 v9, 1, v17
	v_or_b32_e32 v5, 2, v17
	;; [unrolled: 1-line block ×3, first 2 shown]
	s_waitcnt lgkmcnt(0)
	s_cmp_eq_u32 s2, 0
	s_cbranch_scc1 .LBB42_3
; %bb.1:
	v_mbcnt_lo_u32_b32 v2, -1, 0
	v_dual_mov_b32 v15, 0 :: v_dual_lshlrev_b32 v0, 6, v0
	v_mov_b32_e32 v3, 0
	s_delay_alu instid0(VALU_DEP_3) | instskip(NEXT) | instid1(VALU_DEP_1)
	v_dual_mov_b32 v2, 0 :: v_dual_and_b32 v7, 15, v2
	v_lshlrev_b32_e32 v8, 4, v7
	v_mul_u32_u24_e32 v13, 48, v7
	s_delay_alu instid0(VALU_DEP_3) | instskip(SKIP_1) | instid1(VALU_DEP_4)
	v_mov_b32_e32 v18, v2
	v_mov_b32_e32 v10, v2
	v_and_or_b32 v0, 0x3c00, v0, v8
	s_delay_alu instid0(VALU_DEP_1) | instskip(NEXT) | instid1(VALU_DEP_1)
	v_dual_mov_b32 v4, 0 :: v_dual_add_nc_u32 v19, v0, v13
	v_mov_b32_e32 v8, v4
	v_dual_mov_b32 v12, v4 :: v_dual_mov_b32 v13, v17
	v_dual_mov_b32 v16, 0 :: v_dual_mov_b32 v7, v3
	;; [unrolled: 1-line block ×3, first 2 shown]
	v_mov_b32_e32 v14, v18
	.p2align	6
.LBB42_2:                               ; =>This Inner Loop Header: Depth=1
	s_waitcnt lgkmcnt(3)
	ds_store_b128 v0, v[13:16]
	s_waitcnt lgkmcnt(3)
	ds_store_b128 v0, v[9:12] offset:256
	s_waitcnt lgkmcnt(3)
	ds_store_b128 v0, v[5:8] offset:512
	;; [unrolled: 2-line block ×3, first 2 shown]
	; wave barrier
	ds_load_b128 v[13:16], v19
	ds_load_b128 v[9:12], v19 offset:16
	ds_load_b128 v[5:8], v19 offset:32
	;; [unrolled: 1-line block ×3, first 2 shown]
	s_add_i32 s2, s2, -1
	s_delay_alu instid0(SALU_CYCLE_1)
	s_cmp_lg_u32 s2, 0
	; wave barrier
	s_cbranch_scc1 .LBB42_2
	s_branch .LBB42_4
.LBB42_3:
	v_dual_mov_b32 v18, 0 :: v_dual_mov_b32 v15, 0
	v_dual_mov_b32 v16, 0 :: v_dual_mov_b32 v3, 0
	v_dual_mov_b32 v4, 0 :: v_dual_mov_b32 v13, v17
	s_delay_alu instid0(VALU_DEP_3)
	v_dual_mov_b32 v10, v18 :: v_dual_mov_b32 v11, v15
	v_dual_mov_b32 v6, v18 :: v_dual_mov_b32 v7, v15
	v_mov_b32_e32 v2, v18
	v_mov_b32_e32 v14, v18
	;; [unrolled: 1-line block ×4, first 2 shown]
.LBB42_4:
	s_load_b64 s[0:1], s[0:1], 0x0
	v_lshl_or_b32 v17, s15, 10, v17
	v_mov_b32_e32 v18, 0
	s_delay_alu instid0(VALU_DEP_1) | instskip(SKIP_1) | instid1(VALU_DEP_1)
	v_lshlrev_b64 v[17:18], 4, v[17:18]
	s_waitcnt lgkmcnt(0)
	v_add_co_u32 v17, vcc_lo, s0, v17
	s_delay_alu instid0(VALU_DEP_2)
	v_add_co_ci_u32_e32 v18, vcc_lo, s1, v18, vcc_lo
	s_clause 0x3
	global_store_b128 v[17:18], v[13:16], off
	global_store_b128 v[17:18], v[9:12], off offset:16
	global_store_b128 v[17:18], v[5:8], off offset:32
	;; [unrolled: 1-line block ×3, first 2 shown]
	s_nop 0
	s_sendmsg sendmsg(MSG_DEALLOC_VGPRS)
	s_endpgm
	.section	.rodata,"a",@progbits
	.p2align	6, 0x0
	.amdhsa_kernel _Z20warp_exchange_kernelILj256ELj4ELj16EN6common18StripedToBlockedOpEnEvPT3_j
		.amdhsa_group_segment_fixed_size 16384
		.amdhsa_private_segment_fixed_size 0
		.amdhsa_kernarg_size 12
		.amdhsa_user_sgpr_count 15
		.amdhsa_user_sgpr_dispatch_ptr 0
		.amdhsa_user_sgpr_queue_ptr 0
		.amdhsa_user_sgpr_kernarg_segment_ptr 1
		.amdhsa_user_sgpr_dispatch_id 0
		.amdhsa_user_sgpr_private_segment_size 0
		.amdhsa_wavefront_size32 1
		.amdhsa_uses_dynamic_stack 0
		.amdhsa_enable_private_segment 0
		.amdhsa_system_sgpr_workgroup_id_x 1
		.amdhsa_system_sgpr_workgroup_id_y 0
		.amdhsa_system_sgpr_workgroup_id_z 0
		.amdhsa_system_sgpr_workgroup_info 0
		.amdhsa_system_vgpr_workitem_id 0
		.amdhsa_next_free_vgpr 20
		.amdhsa_next_free_sgpr 16
		.amdhsa_reserve_vcc 1
		.amdhsa_float_round_mode_32 0
		.amdhsa_float_round_mode_16_64 0
		.amdhsa_float_denorm_mode_32 3
		.amdhsa_float_denorm_mode_16_64 3
		.amdhsa_dx10_clamp 1
		.amdhsa_ieee_mode 1
		.amdhsa_fp16_overflow 0
		.amdhsa_workgroup_processor_mode 1
		.amdhsa_memory_ordered 1
		.amdhsa_forward_progress 0
		.amdhsa_shared_vgpr_count 0
		.amdhsa_exception_fp_ieee_invalid_op 0
		.amdhsa_exception_fp_denorm_src 0
		.amdhsa_exception_fp_ieee_div_zero 0
		.amdhsa_exception_fp_ieee_overflow 0
		.amdhsa_exception_fp_ieee_underflow 0
		.amdhsa_exception_fp_ieee_inexact 0
		.amdhsa_exception_int_div_zero 0
	.end_amdhsa_kernel
	.section	.text._Z20warp_exchange_kernelILj256ELj4ELj16EN6common18StripedToBlockedOpEnEvPT3_j,"axG",@progbits,_Z20warp_exchange_kernelILj256ELj4ELj16EN6common18StripedToBlockedOpEnEvPT3_j,comdat
.Lfunc_end42:
	.size	_Z20warp_exchange_kernelILj256ELj4ELj16EN6common18StripedToBlockedOpEnEvPT3_j, .Lfunc_end42-_Z20warp_exchange_kernelILj256ELj4ELj16EN6common18StripedToBlockedOpEnEvPT3_j
                                        ; -- End function
	.section	.AMDGPU.csdata,"",@progbits
; Kernel info:
; codeLenInByte = 408
; NumSgprs: 18
; NumVgprs: 20
; ScratchSize: 0
; MemoryBound: 0
; FloatMode: 240
; IeeeMode: 1
; LDSByteSize: 16384 bytes/workgroup (compile time only)
; SGPRBlocks: 2
; VGPRBlocks: 2
; NumSGPRsForWavesPerEU: 18
; NumVGPRsForWavesPerEU: 20
; Occupancy: 16
; WaveLimiterHint : 0
; COMPUTE_PGM_RSRC2:SCRATCH_EN: 0
; COMPUTE_PGM_RSRC2:USER_SGPR: 15
; COMPUTE_PGM_RSRC2:TRAP_HANDLER: 0
; COMPUTE_PGM_RSRC2:TGID_X_EN: 1
; COMPUTE_PGM_RSRC2:TGID_Y_EN: 0
; COMPUTE_PGM_RSRC2:TGID_Z_EN: 0
; COMPUTE_PGM_RSRC2:TIDIG_COMP_CNT: 0
	.section	.text._Z20warp_exchange_kernelILj256ELj4ELj32EN6common18StripedToBlockedOpEnEvPT3_j,"axG",@progbits,_Z20warp_exchange_kernelILj256ELj4ELj32EN6common18StripedToBlockedOpEnEvPT3_j,comdat
	.protected	_Z20warp_exchange_kernelILj256ELj4ELj32EN6common18StripedToBlockedOpEnEvPT3_j ; -- Begin function _Z20warp_exchange_kernelILj256ELj4ELj32EN6common18StripedToBlockedOpEnEvPT3_j
	.globl	_Z20warp_exchange_kernelILj256ELj4ELj32EN6common18StripedToBlockedOpEnEvPT3_j
	.p2align	8
	.type	_Z20warp_exchange_kernelILj256ELj4ELj32EN6common18StripedToBlockedOpEnEvPT3_j,@function
_Z20warp_exchange_kernelILj256ELj4ELj32EN6common18StripedToBlockedOpEnEvPT3_j: ; @_Z20warp_exchange_kernelILj256ELj4ELj32EN6common18StripedToBlockedOpEnEvPT3_j
; %bb.0:
	s_load_b32 s2, s[0:1], 0x8
	v_lshlrev_b32_e32 v17, 2, v0
	s_delay_alu instid0(VALU_DEP_1)
	v_or_b32_e32 v9, 1, v17
	v_or_b32_e32 v5, 2, v17
	;; [unrolled: 1-line block ×3, first 2 shown]
	s_waitcnt lgkmcnt(0)
	s_cmp_eq_u32 s2, 0
	s_cbranch_scc1 .LBB43_3
; %bb.1:
	v_dual_mov_b32 v2, 0 :: v_dual_mov_b32 v3, 0
	v_dual_mov_b32 v15, 0 :: v_dual_lshlrev_b32 v0, 6, v0
	v_mbcnt_lo_u32_b32 v7, -1, 0
	s_delay_alu instid0(VALU_DEP_3) | instskip(SKIP_1) | instid1(VALU_DEP_4)
	v_mov_b32_e32 v18, v2
	v_dual_mov_b32 v4, 0 :: v_dual_mov_b32 v13, v17
	v_and_b32_e32 v8, 0x3800, v0
	v_mov_b32_e32 v16, 0
	v_mov_b32_e32 v6, v2
	s_delay_alu instid0(VALU_DEP_4) | instskip(NEXT) | instid1(VALU_DEP_4)
	v_dual_mov_b32 v12, v4 :: v_dual_mov_b32 v11, v3
	v_lshl_or_b32 v0, v7, 4, v8
	v_lshl_or_b32 v19, v7, 6, v8
	v_dual_mov_b32 v8, v4 :: v_dual_mov_b32 v7, v3
	v_mov_b32_e32 v10, v2
	v_mov_b32_e32 v14, v18
	.p2align	6
.LBB43_2:                               ; =>This Inner Loop Header: Depth=1
	s_waitcnt lgkmcnt(3)
	ds_store_b128 v0, v[13:16]
	s_waitcnt lgkmcnt(3)
	ds_store_b128 v0, v[9:12] offset:512
	s_waitcnt lgkmcnt(3)
	ds_store_b128 v0, v[5:8] offset:1024
	;; [unrolled: 2-line block ×3, first 2 shown]
	; wave barrier
	ds_load_b128 v[13:16], v19
	ds_load_b128 v[9:12], v19 offset:16
	ds_load_b128 v[5:8], v19 offset:32
	ds_load_b128 v[1:4], v19 offset:48
	s_add_i32 s2, s2, -1
	s_delay_alu instid0(SALU_CYCLE_1)
	s_cmp_lg_u32 s2, 0
	; wave barrier
	s_cbranch_scc1 .LBB43_2
	s_branch .LBB43_4
.LBB43_3:
	v_dual_mov_b32 v18, 0 :: v_dual_mov_b32 v15, 0
	v_dual_mov_b32 v16, 0 :: v_dual_mov_b32 v3, 0
	;; [unrolled: 1-line block ×3, first 2 shown]
	s_delay_alu instid0(VALU_DEP_3)
	v_dual_mov_b32 v10, v18 :: v_dual_mov_b32 v11, v15
	v_dual_mov_b32 v6, v18 :: v_dual_mov_b32 v7, v15
	v_mov_b32_e32 v2, v18
	v_mov_b32_e32 v14, v18
	;; [unrolled: 1-line block ×4, first 2 shown]
.LBB43_4:
	s_load_b64 s[0:1], s[0:1], 0x0
	v_lshl_or_b32 v17, s15, 10, v17
	v_mov_b32_e32 v18, 0
	s_delay_alu instid0(VALU_DEP_1) | instskip(SKIP_1) | instid1(VALU_DEP_1)
	v_lshlrev_b64 v[17:18], 4, v[17:18]
	s_waitcnt lgkmcnt(0)
	v_add_co_u32 v17, vcc_lo, s0, v17
	s_delay_alu instid0(VALU_DEP_2)
	v_add_co_ci_u32_e32 v18, vcc_lo, s1, v18, vcc_lo
	s_clause 0x3
	global_store_b128 v[17:18], v[13:16], off
	global_store_b128 v[17:18], v[9:12], off offset:16
	global_store_b128 v[17:18], v[5:8], off offset:32
	;; [unrolled: 1-line block ×3, first 2 shown]
	s_nop 0
	s_sendmsg sendmsg(MSG_DEALLOC_VGPRS)
	s_endpgm
	.section	.rodata,"a",@progbits
	.p2align	6, 0x0
	.amdhsa_kernel _Z20warp_exchange_kernelILj256ELj4ELj32EN6common18StripedToBlockedOpEnEvPT3_j
		.amdhsa_group_segment_fixed_size 16384
		.amdhsa_private_segment_fixed_size 0
		.amdhsa_kernarg_size 12
		.amdhsa_user_sgpr_count 15
		.amdhsa_user_sgpr_dispatch_ptr 0
		.amdhsa_user_sgpr_queue_ptr 0
		.amdhsa_user_sgpr_kernarg_segment_ptr 1
		.amdhsa_user_sgpr_dispatch_id 0
		.amdhsa_user_sgpr_private_segment_size 0
		.amdhsa_wavefront_size32 1
		.amdhsa_uses_dynamic_stack 0
		.amdhsa_enable_private_segment 0
		.amdhsa_system_sgpr_workgroup_id_x 1
		.amdhsa_system_sgpr_workgroup_id_y 0
		.amdhsa_system_sgpr_workgroup_id_z 0
		.amdhsa_system_sgpr_workgroup_info 0
		.amdhsa_system_vgpr_workitem_id 0
		.amdhsa_next_free_vgpr 20
		.amdhsa_next_free_sgpr 16
		.amdhsa_reserve_vcc 1
		.amdhsa_float_round_mode_32 0
		.amdhsa_float_round_mode_16_64 0
		.amdhsa_float_denorm_mode_32 3
		.amdhsa_float_denorm_mode_16_64 3
		.amdhsa_dx10_clamp 1
		.amdhsa_ieee_mode 1
		.amdhsa_fp16_overflow 0
		.amdhsa_workgroup_processor_mode 1
		.amdhsa_memory_ordered 1
		.amdhsa_forward_progress 0
		.amdhsa_shared_vgpr_count 0
		.amdhsa_exception_fp_ieee_invalid_op 0
		.amdhsa_exception_fp_denorm_src 0
		.amdhsa_exception_fp_ieee_div_zero 0
		.amdhsa_exception_fp_ieee_overflow 0
		.amdhsa_exception_fp_ieee_underflow 0
		.amdhsa_exception_fp_ieee_inexact 0
		.amdhsa_exception_int_div_zero 0
	.end_amdhsa_kernel
	.section	.text._Z20warp_exchange_kernelILj256ELj4ELj32EN6common18StripedToBlockedOpEnEvPT3_j,"axG",@progbits,_Z20warp_exchange_kernelILj256ELj4ELj32EN6common18StripedToBlockedOpEnEvPT3_j,comdat
.Lfunc_end43:
	.size	_Z20warp_exchange_kernelILj256ELj4ELj32EN6common18StripedToBlockedOpEnEvPT3_j, .Lfunc_end43-_Z20warp_exchange_kernelILj256ELj4ELj32EN6common18StripedToBlockedOpEnEvPT3_j
                                        ; -- End function
	.section	.AMDGPU.csdata,"",@progbits
; Kernel info:
; codeLenInByte = 400
; NumSgprs: 18
; NumVgprs: 20
; ScratchSize: 0
; MemoryBound: 0
; FloatMode: 240
; IeeeMode: 1
; LDSByteSize: 16384 bytes/workgroup (compile time only)
; SGPRBlocks: 2
; VGPRBlocks: 2
; NumSGPRsForWavesPerEU: 18
; NumVGPRsForWavesPerEU: 20
; Occupancy: 16
; WaveLimiterHint : 0
; COMPUTE_PGM_RSRC2:SCRATCH_EN: 0
; COMPUTE_PGM_RSRC2:USER_SGPR: 15
; COMPUTE_PGM_RSRC2:TRAP_HANDLER: 0
; COMPUTE_PGM_RSRC2:TGID_X_EN: 1
; COMPUTE_PGM_RSRC2:TGID_Y_EN: 0
; COMPUTE_PGM_RSRC2:TGID_Z_EN: 0
; COMPUTE_PGM_RSRC2:TIDIG_COMP_CNT: 0
	.section	.text._Z20warp_exchange_kernelILj256ELj16ELj16EN6common18StripedToBlockedOpEnEvPT3_j,"axG",@progbits,_Z20warp_exchange_kernelILj256ELj16ELj16EN6common18StripedToBlockedOpEnEvPT3_j,comdat
	.protected	_Z20warp_exchange_kernelILj256ELj16ELj16EN6common18StripedToBlockedOpEnEvPT3_j ; -- Begin function _Z20warp_exchange_kernelILj256ELj16ELj16EN6common18StripedToBlockedOpEnEvPT3_j
	.globl	_Z20warp_exchange_kernelILj256ELj16ELj16EN6common18StripedToBlockedOpEnEvPT3_j
	.p2align	8
	.type	_Z20warp_exchange_kernelILj256ELj16ELj16EN6common18StripedToBlockedOpEnEvPT3_j,@function
_Z20warp_exchange_kernelILj256ELj16ELj16EN6common18StripedToBlockedOpEnEvPT3_j: ; @_Z20warp_exchange_kernelILj256ELj16ELj16EN6common18StripedToBlockedOpEnEvPT3_j
; %bb.0:
	s_load_b32 s2, s[0:1], 0x8
	v_lshlrev_b32_e32 v65, 4, v0
	s_delay_alu instid0(VALU_DEP_1)
	v_or_b32_e32 v57, 1, v65
	v_or_b32_e32 v45, 2, v65
	;; [unrolled: 1-line block ×15, first 2 shown]
	s_waitcnt lgkmcnt(0)
	s_cmp_eq_u32 s2, 0
	s_cbranch_scc1 .LBB44_3
; %bb.1:
	v_mbcnt_lo_u32_b32 v7, -1, 0
	v_dual_mov_b32 v2, 0 :: v_dual_mov_b32 v63, 0
	v_dual_mov_b32 v64, 0 :: v_dual_mov_b32 v3, 0
	s_delay_alu instid0(VALU_DEP_3) | instskip(SKIP_1) | instid1(VALU_DEP_4)
	v_dual_mov_b32 v4, 0 :: v_dual_and_b32 v7, 15, v7
	v_lshlrev_b32_e32 v0, 8, v0
	v_mov_b32_e32 v66, v2
	v_dual_mov_b32 v58, v2 :: v_dual_mov_b32 v61, v65
	s_delay_alu instid0(VALU_DEP_4)
	v_lshlrev_b32_e32 v8, 4, v7
	v_mov_b32_e32 v32, v4
	v_dual_mov_b32 v40, v4 :: v_dual_mov_b32 v39, v3
	v_mul_u32_u24_e32 v7, 0xf0, v7
	v_mov_b32_e32 v31, v3
	v_and_or_b32 v0, 0xf000, v0, v8
	v_mov_b32_e32 v6, v2
	v_mov_b32_e32 v12, v4
	;; [unrolled: 1-line block ×4, first 2 shown]
	v_add_nc_u32_e32 v67, v0, v7
	v_mov_b32_e32 v8, v4
	v_mov_b32_e32 v24, v4
	;; [unrolled: 1-line block ×9, first 2 shown]
	v_dual_mov_b32 v10, v2 :: v_dual_mov_b32 v7, v3
	v_dual_mov_b32 v14, v2 :: v_dual_mov_b32 v11, v3
	;; [unrolled: 1-line block ×12, first 2 shown]
	v_mov_b32_e32 v62, v66
.LBB44_2:                               ; =>This Inner Loop Header: Depth=1
	s_waitcnt lgkmcnt(15)
	ds_store_b128 v0, v[61:64]
	s_waitcnt lgkmcnt(15)
	ds_store_b128 v0, v[57:60] offset:256
	s_waitcnt lgkmcnt(15)
	ds_store_b128 v0, v[45:48] offset:512
	;; [unrolled: 2-line block ×15, first 2 shown]
	; wave barrier
	ds_load_b128 v[61:64], v67
	ds_load_b128 v[57:60], v67 offset:16
	ds_load_b128 v[45:48], v67 offset:32
	ds_load_b128 v[33:36], v67 offset:48
	ds_load_b128 v[53:56], v67 offset:64
	ds_load_b128 v[49:52], v67 offset:80
	ds_load_b128 v[41:44], v67 offset:96
	ds_load_b128 v[37:40], v67 offset:112
	ds_load_b128 v[29:32], v67 offset:128
	ds_load_b128 v[25:28], v67 offset:144
	ds_load_b128 v[21:24], v67 offset:160
	ds_load_b128 v[17:20], v67 offset:176
	ds_load_b128 v[13:16], v67 offset:192
	ds_load_b128 v[9:12], v67 offset:208
	ds_load_b128 v[5:8], v67 offset:224
	ds_load_b128 v[1:4], v67 offset:240
	s_add_i32 s2, s2, -1
	s_delay_alu instid0(SALU_CYCLE_1)
	s_cmp_lg_u32 s2, 0
	; wave barrier
	s_cbranch_scc1 .LBB44_2
	s_branch .LBB44_4
.LBB44_3:
	v_dual_mov_b32 v66, 0 :: v_dual_mov_b32 v3, 0
	v_dual_mov_b32 v4, 0 :: v_dual_mov_b32 v63, 0
	;; [unrolled: 1-line block ×3, first 2 shown]
	s_delay_alu instid0(VALU_DEP_2)
	v_dual_mov_b32 v58, v66 :: v_dual_mov_b32 v59, v63
	v_dual_mov_b32 v46, v66 :: v_dual_mov_b32 v47, v63
	v_dual_mov_b32 v34, v66 :: v_dual_mov_b32 v35, v63
	v_dual_mov_b32 v54, v66 :: v_dual_mov_b32 v55, v63
	v_dual_mov_b32 v50, v66 :: v_dual_mov_b32 v51, v63
	v_dual_mov_b32 v42, v66 :: v_dual_mov_b32 v43, v63
	v_dual_mov_b32 v38, v66 :: v_dual_mov_b32 v39, v63
	v_dual_mov_b32 v30, v66 :: v_dual_mov_b32 v31, v63
	v_dual_mov_b32 v26, v66 :: v_dual_mov_b32 v27, v63
	v_dual_mov_b32 v22, v66 :: v_dual_mov_b32 v23, v63
	v_dual_mov_b32 v18, v66 :: v_dual_mov_b32 v19, v63
	v_dual_mov_b32 v14, v66 :: v_dual_mov_b32 v15, v63
	v_dual_mov_b32 v10, v66 :: v_dual_mov_b32 v11, v63
	v_dual_mov_b32 v6, v66 :: v_dual_mov_b32 v7, v63
	v_mov_b32_e32 v2, v66
	v_mov_b32_e32 v62, v66
	;; [unrolled: 1-line block ×16, first 2 shown]
.LBB44_4:
	s_load_b64 s[0:1], s[0:1], 0x0
	v_lshl_or_b32 v65, s15, 12, v65
	v_mov_b32_e32 v66, 0
	s_delay_alu instid0(VALU_DEP_1) | instskip(SKIP_1) | instid1(VALU_DEP_1)
	v_lshlrev_b64 v[65:66], 4, v[65:66]
	s_waitcnt lgkmcnt(0)
	v_add_co_u32 v65, vcc_lo, s0, v65
	s_delay_alu instid0(VALU_DEP_2)
	v_add_co_ci_u32_e32 v66, vcc_lo, s1, v66, vcc_lo
	s_clause 0xf
	global_store_b128 v[65:66], v[61:64], off
	global_store_b128 v[65:66], v[57:60], off offset:16
	global_store_b128 v[65:66], v[45:48], off offset:32
	;; [unrolled: 1-line block ×15, first 2 shown]
	s_nop 0
	s_sendmsg sendmsg(MSG_DEALLOC_VGPRS)
	s_endpgm
	.section	.rodata,"a",@progbits
	.p2align	6, 0x0
	.amdhsa_kernel _Z20warp_exchange_kernelILj256ELj16ELj16EN6common18StripedToBlockedOpEnEvPT3_j
		.amdhsa_group_segment_fixed_size 65536
		.amdhsa_private_segment_fixed_size 0
		.amdhsa_kernarg_size 12
		.amdhsa_user_sgpr_count 15
		.amdhsa_user_sgpr_dispatch_ptr 0
		.amdhsa_user_sgpr_queue_ptr 0
		.amdhsa_user_sgpr_kernarg_segment_ptr 1
		.amdhsa_user_sgpr_dispatch_id 0
		.amdhsa_user_sgpr_private_segment_size 0
		.amdhsa_wavefront_size32 1
		.amdhsa_uses_dynamic_stack 0
		.amdhsa_enable_private_segment 0
		.amdhsa_system_sgpr_workgroup_id_x 1
		.amdhsa_system_sgpr_workgroup_id_y 0
		.amdhsa_system_sgpr_workgroup_id_z 0
		.amdhsa_system_sgpr_workgroup_info 0
		.amdhsa_system_vgpr_workitem_id 0
		.amdhsa_next_free_vgpr 68
		.amdhsa_next_free_sgpr 16
		.amdhsa_reserve_vcc 1
		.amdhsa_float_round_mode_32 0
		.amdhsa_float_round_mode_16_64 0
		.amdhsa_float_denorm_mode_32 3
		.amdhsa_float_denorm_mode_16_64 3
		.amdhsa_dx10_clamp 1
		.amdhsa_ieee_mode 1
		.amdhsa_fp16_overflow 0
		.amdhsa_workgroup_processor_mode 1
		.amdhsa_memory_ordered 1
		.amdhsa_forward_progress 0
		.amdhsa_shared_vgpr_count 0
		.amdhsa_exception_fp_ieee_invalid_op 0
		.amdhsa_exception_fp_denorm_src 0
		.amdhsa_exception_fp_ieee_div_zero 0
		.amdhsa_exception_fp_ieee_overflow 0
		.amdhsa_exception_fp_ieee_underflow 0
		.amdhsa_exception_fp_ieee_inexact 0
		.amdhsa_exception_int_div_zero 0
	.end_amdhsa_kernel
	.section	.text._Z20warp_exchange_kernelILj256ELj16ELj16EN6common18StripedToBlockedOpEnEvPT3_j,"axG",@progbits,_Z20warp_exchange_kernelILj256ELj16ELj16EN6common18StripedToBlockedOpEnEvPT3_j,comdat
.Lfunc_end44:
	.size	_Z20warp_exchange_kernelILj256ELj16ELj16EN6common18StripedToBlockedOpEnEvPT3_j, .Lfunc_end44-_Z20warp_exchange_kernelILj256ELj16ELj16EN6common18StripedToBlockedOpEnEvPT3_j
                                        ; -- End function
	.section	.AMDGPU.csdata,"",@progbits
; Kernel info:
; codeLenInByte = 1080
; NumSgprs: 18
; NumVgprs: 68
; ScratchSize: 0
; MemoryBound: 1
; FloatMode: 240
; IeeeMode: 1
; LDSByteSize: 65536 bytes/workgroup (compile time only)
; SGPRBlocks: 2
; VGPRBlocks: 8
; NumSGPRsForWavesPerEU: 18
; NumVGPRsForWavesPerEU: 68
; Occupancy: 4
; WaveLimiterHint : 1
; COMPUTE_PGM_RSRC2:SCRATCH_EN: 0
; COMPUTE_PGM_RSRC2:USER_SGPR: 15
; COMPUTE_PGM_RSRC2:TRAP_HANDLER: 0
; COMPUTE_PGM_RSRC2:TGID_X_EN: 1
; COMPUTE_PGM_RSRC2:TGID_Y_EN: 0
; COMPUTE_PGM_RSRC2:TGID_Z_EN: 0
; COMPUTE_PGM_RSRC2:TIDIG_COMP_CNT: 0
	.section	.text._Z20warp_exchange_kernelILj256ELj16ELj32EN6common18StripedToBlockedOpEnEvPT3_j,"axG",@progbits,_Z20warp_exchange_kernelILj256ELj16ELj32EN6common18StripedToBlockedOpEnEvPT3_j,comdat
	.protected	_Z20warp_exchange_kernelILj256ELj16ELj32EN6common18StripedToBlockedOpEnEvPT3_j ; -- Begin function _Z20warp_exchange_kernelILj256ELj16ELj32EN6common18StripedToBlockedOpEnEvPT3_j
	.globl	_Z20warp_exchange_kernelILj256ELj16ELj32EN6common18StripedToBlockedOpEnEvPT3_j
	.p2align	8
	.type	_Z20warp_exchange_kernelILj256ELj16ELj32EN6common18StripedToBlockedOpEnEvPT3_j,@function
_Z20warp_exchange_kernelILj256ELj16ELj32EN6common18StripedToBlockedOpEnEvPT3_j: ; @_Z20warp_exchange_kernelILj256ELj16ELj32EN6common18StripedToBlockedOpEnEvPT3_j
; %bb.0:
	s_load_b32 s2, s[0:1], 0x8
	v_lshlrev_b32_e32 v65, 4, v0
	s_delay_alu instid0(VALU_DEP_1)
	v_or_b32_e32 v57, 1, v65
	v_or_b32_e32 v45, 2, v65
	;; [unrolled: 1-line block ×15, first 2 shown]
	s_waitcnt lgkmcnt(0)
	s_cmp_eq_u32 s2, 0
	s_cbranch_scc1 .LBB45_3
; %bb.1:
	v_lshlrev_b32_e32 v0, 8, v0
	v_dual_mov_b32 v2, 0 :: v_dual_mov_b32 v63, 0
	v_dual_mov_b32 v64, 0 :: v_dual_mov_b32 v3, 0
	s_delay_alu instid0(VALU_DEP_3) | instskip(SKIP_1) | instid1(VALU_DEP_4)
	v_dual_mov_b32 v4, 0 :: v_dual_and_b32 v7, 0xe000, v0
	v_mbcnt_lo_u32_b32 v8, -1, 0
	v_mov_b32_e32 v66, v2
	v_dual_mov_b32 v58, v2 :: v_dual_mov_b32 v61, v65
	s_delay_alu instid0(VALU_DEP_4) | instskip(NEXT) | instid1(VALU_DEP_4)
	v_mov_b32_e32 v12, v4
	v_lshl_or_b32 v0, v8, 4, v7
	v_lshl_or_b32 v67, v8, 8, v7
	v_mov_b32_e32 v8, v4
	v_mov_b32_e32 v16, v4
	;; [unrolled: 1-line block ×13, first 2 shown]
	v_dual_mov_b32 v6, v2 :: v_dual_mov_b32 v7, v3
	v_dual_mov_b32 v10, v2 :: v_dual_mov_b32 v11, v3
	;; [unrolled: 1-line block ×14, first 2 shown]
.LBB45_2:                               ; =>This Inner Loop Header: Depth=1
	s_waitcnt lgkmcnt(15)
	ds_store_b128 v0, v[61:64]
	s_waitcnt lgkmcnt(15)
	ds_store_b128 v0, v[57:60] offset:512
	s_waitcnt lgkmcnt(15)
	ds_store_b128 v0, v[45:48] offset:1024
	;; [unrolled: 2-line block ×15, first 2 shown]
	; wave barrier
	ds_load_b128 v[61:64], v67
	ds_load_b128 v[57:60], v67 offset:16
	ds_load_b128 v[45:48], v67 offset:32
	;; [unrolled: 1-line block ×15, first 2 shown]
	s_add_i32 s2, s2, -1
	s_delay_alu instid0(SALU_CYCLE_1)
	s_cmp_lg_u32 s2, 0
	; wave barrier
	s_cbranch_scc1 .LBB45_2
	s_branch .LBB45_4
.LBB45_3:
	v_dual_mov_b32 v66, 0 :: v_dual_mov_b32 v3, 0
	v_dual_mov_b32 v4, 0 :: v_dual_mov_b32 v63, 0
	;; [unrolled: 1-line block ×3, first 2 shown]
	s_delay_alu instid0(VALU_DEP_2)
	v_dual_mov_b32 v58, v66 :: v_dual_mov_b32 v59, v63
	v_dual_mov_b32 v46, v66 :: v_dual_mov_b32 v47, v63
	;; [unrolled: 1-line block ×14, first 2 shown]
	v_mov_b32_e32 v2, v66
	v_mov_b32_e32 v62, v66
	;; [unrolled: 1-line block ×16, first 2 shown]
.LBB45_4:
	s_load_b64 s[0:1], s[0:1], 0x0
	v_lshl_or_b32 v65, s15, 12, v65
	v_mov_b32_e32 v66, 0
	s_delay_alu instid0(VALU_DEP_1) | instskip(SKIP_1) | instid1(VALU_DEP_1)
	v_lshlrev_b64 v[65:66], 4, v[65:66]
	s_waitcnt lgkmcnt(0)
	v_add_co_u32 v65, vcc_lo, s0, v65
	s_delay_alu instid0(VALU_DEP_2)
	v_add_co_ci_u32_e32 v66, vcc_lo, s1, v66, vcc_lo
	s_clause 0xf
	global_store_b128 v[65:66], v[61:64], off
	global_store_b128 v[65:66], v[57:60], off offset:16
	global_store_b128 v[65:66], v[45:48], off offset:32
	;; [unrolled: 1-line block ×15, first 2 shown]
	s_nop 0
	s_sendmsg sendmsg(MSG_DEALLOC_VGPRS)
	s_endpgm
	.section	.rodata,"a",@progbits
	.p2align	6, 0x0
	.amdhsa_kernel _Z20warp_exchange_kernelILj256ELj16ELj32EN6common18StripedToBlockedOpEnEvPT3_j
		.amdhsa_group_segment_fixed_size 65536
		.amdhsa_private_segment_fixed_size 0
		.amdhsa_kernarg_size 12
		.amdhsa_user_sgpr_count 15
		.amdhsa_user_sgpr_dispatch_ptr 0
		.amdhsa_user_sgpr_queue_ptr 0
		.amdhsa_user_sgpr_kernarg_segment_ptr 1
		.amdhsa_user_sgpr_dispatch_id 0
		.amdhsa_user_sgpr_private_segment_size 0
		.amdhsa_wavefront_size32 1
		.amdhsa_uses_dynamic_stack 0
		.amdhsa_enable_private_segment 0
		.amdhsa_system_sgpr_workgroup_id_x 1
		.amdhsa_system_sgpr_workgroup_id_y 0
		.amdhsa_system_sgpr_workgroup_id_z 0
		.amdhsa_system_sgpr_workgroup_info 0
		.amdhsa_system_vgpr_workitem_id 0
		.amdhsa_next_free_vgpr 68
		.amdhsa_next_free_sgpr 16
		.amdhsa_reserve_vcc 1
		.amdhsa_float_round_mode_32 0
		.amdhsa_float_round_mode_16_64 0
		.amdhsa_float_denorm_mode_32 3
		.amdhsa_float_denorm_mode_16_64 3
		.amdhsa_dx10_clamp 1
		.amdhsa_ieee_mode 1
		.amdhsa_fp16_overflow 0
		.amdhsa_workgroup_processor_mode 1
		.amdhsa_memory_ordered 1
		.amdhsa_forward_progress 0
		.amdhsa_shared_vgpr_count 0
		.amdhsa_exception_fp_ieee_invalid_op 0
		.amdhsa_exception_fp_denorm_src 0
		.amdhsa_exception_fp_ieee_div_zero 0
		.amdhsa_exception_fp_ieee_overflow 0
		.amdhsa_exception_fp_ieee_underflow 0
		.amdhsa_exception_fp_ieee_inexact 0
		.amdhsa_exception_int_div_zero 0
	.end_amdhsa_kernel
	.section	.text._Z20warp_exchange_kernelILj256ELj16ELj32EN6common18StripedToBlockedOpEnEvPT3_j,"axG",@progbits,_Z20warp_exchange_kernelILj256ELj16ELj32EN6common18StripedToBlockedOpEnEvPT3_j,comdat
.Lfunc_end45:
	.size	_Z20warp_exchange_kernelILj256ELj16ELj32EN6common18StripedToBlockedOpEnEvPT3_j, .Lfunc_end45-_Z20warp_exchange_kernelILj256ELj16ELj32EN6common18StripedToBlockedOpEnEvPT3_j
                                        ; -- End function
	.section	.AMDGPU.csdata,"",@progbits
; Kernel info:
; codeLenInByte = 1072
; NumSgprs: 18
; NumVgprs: 68
; ScratchSize: 0
; MemoryBound: 1
; FloatMode: 240
; IeeeMode: 1
; LDSByteSize: 65536 bytes/workgroup (compile time only)
; SGPRBlocks: 2
; VGPRBlocks: 8
; NumSGPRsForWavesPerEU: 18
; NumVGPRsForWavesPerEU: 68
; Occupancy: 4
; WaveLimiterHint : 1
; COMPUTE_PGM_RSRC2:SCRATCH_EN: 0
; COMPUTE_PGM_RSRC2:USER_SGPR: 15
; COMPUTE_PGM_RSRC2:TRAP_HANDLER: 0
; COMPUTE_PGM_RSRC2:TGID_X_EN: 1
; COMPUTE_PGM_RSRC2:TGID_Y_EN: 0
; COMPUTE_PGM_RSRC2:TGID_Z_EN: 0
; COMPUTE_PGM_RSRC2:TIDIG_COMP_CNT: 0
	.section	.text._Z20warp_exchange_kernelILj256ELj1ELj16EN6common25BlockedToStripedShuffleOpEnEvPT3_j,"axG",@progbits,_Z20warp_exchange_kernelILj256ELj1ELj16EN6common25BlockedToStripedShuffleOpEnEvPT3_j,comdat
	.protected	_Z20warp_exchange_kernelILj256ELj1ELj16EN6common25BlockedToStripedShuffleOpEnEvPT3_j ; -- Begin function _Z20warp_exchange_kernelILj256ELj1ELj16EN6common25BlockedToStripedShuffleOpEnEvPT3_j
	.globl	_Z20warp_exchange_kernelILj256ELj1ELj16EN6common25BlockedToStripedShuffleOpEnEvPT3_j
	.p2align	8
	.type	_Z20warp_exchange_kernelILj256ELj1ELj16EN6common25BlockedToStripedShuffleOpEnEvPT3_j,@function
_Z20warp_exchange_kernelILj256ELj1ELj16EN6common25BlockedToStripedShuffleOpEnEvPT3_j: ; @_Z20warp_exchange_kernelILj256ELj1ELj16EN6common25BlockedToStripedShuffleOpEnEvPT3_j
; %bb.0:
	s_load_b32 s2, s[0:1], 0x8
	s_waitcnt lgkmcnt(0)
	s_cmp_eq_u32 s2, 0
	s_cbranch_scc1 .LBB46_3
; %bb.1:
	v_mbcnt_lo_u32_b32 v3, -1, 0
	v_dual_mov_b32 v4, 0 :: v_dual_mov_b32 v1, v0
	s_delay_alu instid0(VALU_DEP_2)
	v_dual_mov_b32 v2, 0 :: v_dual_lshlrev_b32 v5, 2, v3
	v_mov_b32_e32 v3, 0
.LBB46_2:                               ; =>This Inner Loop Header: Depth=1
	s_waitcnt lgkmcnt(3)
	ds_bpermute_b32 v1, v5, v1
	s_waitcnt lgkmcnt(3)
	ds_bpermute_b32 v2, v5, v2
	;; [unrolled: 2-line block ×4, first 2 shown]
	s_add_i32 s2, s2, -1
	s_delay_alu instid0(SALU_CYCLE_1)
	s_cmp_lg_u32 s2, 0
	; wave barrier
	s_cbranch_scc1 .LBB46_2
	s_branch .LBB46_4
.LBB46_3:
	v_dual_mov_b32 v4, 0 :: v_dual_mov_b32 v1, v0
	v_dual_mov_b32 v2, 0 :: v_dual_mov_b32 v3, 0
.LBB46_4:
	s_load_b64 s[0:1], s[0:1], 0x0
	v_lshl_or_b32 v5, s15, 8, v0
	v_mov_b32_e32 v6, 0
	s_delay_alu instid0(VALU_DEP_1) | instskip(SKIP_1) | instid1(VALU_DEP_1)
	v_lshlrev_b64 v[5:6], 4, v[5:6]
	s_waitcnt lgkmcnt(0)
	v_add_co_u32 v5, vcc_lo, s0, v5
	s_delay_alu instid0(VALU_DEP_2)
	v_add_co_ci_u32_e32 v6, vcc_lo, s1, v6, vcc_lo
	global_store_b128 v[5:6], v[1:4], off
	s_nop 0
	s_sendmsg sendmsg(MSG_DEALLOC_VGPRS)
	s_endpgm
	.section	.rodata,"a",@progbits
	.p2align	6, 0x0
	.amdhsa_kernel _Z20warp_exchange_kernelILj256ELj1ELj16EN6common25BlockedToStripedShuffleOpEnEvPT3_j
		.amdhsa_group_segment_fixed_size 0
		.amdhsa_private_segment_fixed_size 0
		.amdhsa_kernarg_size 12
		.amdhsa_user_sgpr_count 15
		.amdhsa_user_sgpr_dispatch_ptr 0
		.amdhsa_user_sgpr_queue_ptr 0
		.amdhsa_user_sgpr_kernarg_segment_ptr 1
		.amdhsa_user_sgpr_dispatch_id 0
		.amdhsa_user_sgpr_private_segment_size 0
		.amdhsa_wavefront_size32 1
		.amdhsa_uses_dynamic_stack 0
		.amdhsa_enable_private_segment 0
		.amdhsa_system_sgpr_workgroup_id_x 1
		.amdhsa_system_sgpr_workgroup_id_y 0
		.amdhsa_system_sgpr_workgroup_id_z 0
		.amdhsa_system_sgpr_workgroup_info 0
		.amdhsa_system_vgpr_workitem_id 0
		.amdhsa_next_free_vgpr 7
		.amdhsa_next_free_sgpr 16
		.amdhsa_reserve_vcc 1
		.amdhsa_float_round_mode_32 0
		.amdhsa_float_round_mode_16_64 0
		.amdhsa_float_denorm_mode_32 3
		.amdhsa_float_denorm_mode_16_64 3
		.amdhsa_dx10_clamp 1
		.amdhsa_ieee_mode 1
		.amdhsa_fp16_overflow 0
		.amdhsa_workgroup_processor_mode 1
		.amdhsa_memory_ordered 1
		.amdhsa_forward_progress 0
		.amdhsa_shared_vgpr_count 0
		.amdhsa_exception_fp_ieee_invalid_op 0
		.amdhsa_exception_fp_denorm_src 0
		.amdhsa_exception_fp_ieee_div_zero 0
		.amdhsa_exception_fp_ieee_overflow 0
		.amdhsa_exception_fp_ieee_underflow 0
		.amdhsa_exception_fp_ieee_inexact 0
		.amdhsa_exception_int_div_zero 0
	.end_amdhsa_kernel
	.section	.text._Z20warp_exchange_kernelILj256ELj1ELj16EN6common25BlockedToStripedShuffleOpEnEvPT3_j,"axG",@progbits,_Z20warp_exchange_kernelILj256ELj1ELj16EN6common25BlockedToStripedShuffleOpEnEvPT3_j,comdat
.Lfunc_end46:
	.size	_Z20warp_exchange_kernelILj256ELj1ELj16EN6common25BlockedToStripedShuffleOpEnEvPT3_j, .Lfunc_end46-_Z20warp_exchange_kernelILj256ELj1ELj16EN6common25BlockedToStripedShuffleOpEnEvPT3_j
                                        ; -- End function
	.section	.AMDGPU.csdata,"",@progbits
; Kernel info:
; codeLenInByte = 208
; NumSgprs: 18
; NumVgprs: 7
; ScratchSize: 0
; MemoryBound: 0
; FloatMode: 240
; IeeeMode: 1
; LDSByteSize: 0 bytes/workgroup (compile time only)
; SGPRBlocks: 2
; VGPRBlocks: 0
; NumSGPRsForWavesPerEU: 18
; NumVGPRsForWavesPerEU: 7
; Occupancy: 16
; WaveLimiterHint : 0
; COMPUTE_PGM_RSRC2:SCRATCH_EN: 0
; COMPUTE_PGM_RSRC2:USER_SGPR: 15
; COMPUTE_PGM_RSRC2:TRAP_HANDLER: 0
; COMPUTE_PGM_RSRC2:TGID_X_EN: 1
; COMPUTE_PGM_RSRC2:TGID_Y_EN: 0
; COMPUTE_PGM_RSRC2:TGID_Z_EN: 0
; COMPUTE_PGM_RSRC2:TIDIG_COMP_CNT: 0
	.section	.text._Z20warp_exchange_kernelILj256ELj1ELj32EN6common25BlockedToStripedShuffleOpEnEvPT3_j,"axG",@progbits,_Z20warp_exchange_kernelILj256ELj1ELj32EN6common25BlockedToStripedShuffleOpEnEvPT3_j,comdat
	.protected	_Z20warp_exchange_kernelILj256ELj1ELj32EN6common25BlockedToStripedShuffleOpEnEvPT3_j ; -- Begin function _Z20warp_exchange_kernelILj256ELj1ELj32EN6common25BlockedToStripedShuffleOpEnEvPT3_j
	.globl	_Z20warp_exchange_kernelILj256ELj1ELj32EN6common25BlockedToStripedShuffleOpEnEvPT3_j
	.p2align	8
	.type	_Z20warp_exchange_kernelILj256ELj1ELj32EN6common25BlockedToStripedShuffleOpEnEvPT3_j,@function
_Z20warp_exchange_kernelILj256ELj1ELj32EN6common25BlockedToStripedShuffleOpEnEvPT3_j: ; @_Z20warp_exchange_kernelILj256ELj1ELj32EN6common25BlockedToStripedShuffleOpEnEvPT3_j
; %bb.0:
	s_load_b32 s2, s[0:1], 0x8
	s_waitcnt lgkmcnt(0)
	s_cmp_eq_u32 s2, 0
	s_cbranch_scc1 .LBB47_3
; %bb.1:
	v_mbcnt_lo_u32_b32 v3, -1, 0
	v_dual_mov_b32 v4, 0 :: v_dual_mov_b32 v1, v0
	s_delay_alu instid0(VALU_DEP_2)
	v_dual_mov_b32 v2, 0 :: v_dual_lshlrev_b32 v5, 2, v3
	v_mov_b32_e32 v3, 0
.LBB47_2:                               ; =>This Inner Loop Header: Depth=1
	s_waitcnt lgkmcnt(3)
	ds_bpermute_b32 v1, v5, v1
	s_waitcnt lgkmcnt(3)
	ds_bpermute_b32 v2, v5, v2
	;; [unrolled: 2-line block ×4, first 2 shown]
	s_add_i32 s2, s2, -1
	s_delay_alu instid0(SALU_CYCLE_1)
	s_cmp_lg_u32 s2, 0
	; wave barrier
	s_cbranch_scc1 .LBB47_2
	s_branch .LBB47_4
.LBB47_3:
	v_dual_mov_b32 v4, 0 :: v_dual_mov_b32 v1, v0
	v_dual_mov_b32 v2, 0 :: v_dual_mov_b32 v3, 0
.LBB47_4:
	s_load_b64 s[0:1], s[0:1], 0x0
	v_lshl_or_b32 v5, s15, 8, v0
	v_mov_b32_e32 v6, 0
	s_delay_alu instid0(VALU_DEP_1) | instskip(SKIP_1) | instid1(VALU_DEP_1)
	v_lshlrev_b64 v[5:6], 4, v[5:6]
	s_waitcnt lgkmcnt(0)
	v_add_co_u32 v5, vcc_lo, s0, v5
	s_delay_alu instid0(VALU_DEP_2)
	v_add_co_ci_u32_e32 v6, vcc_lo, s1, v6, vcc_lo
	global_store_b128 v[5:6], v[1:4], off
	s_nop 0
	s_sendmsg sendmsg(MSG_DEALLOC_VGPRS)
	s_endpgm
	.section	.rodata,"a",@progbits
	.p2align	6, 0x0
	.amdhsa_kernel _Z20warp_exchange_kernelILj256ELj1ELj32EN6common25BlockedToStripedShuffleOpEnEvPT3_j
		.amdhsa_group_segment_fixed_size 0
		.amdhsa_private_segment_fixed_size 0
		.amdhsa_kernarg_size 12
		.amdhsa_user_sgpr_count 15
		.amdhsa_user_sgpr_dispatch_ptr 0
		.amdhsa_user_sgpr_queue_ptr 0
		.amdhsa_user_sgpr_kernarg_segment_ptr 1
		.amdhsa_user_sgpr_dispatch_id 0
		.amdhsa_user_sgpr_private_segment_size 0
		.amdhsa_wavefront_size32 1
		.amdhsa_uses_dynamic_stack 0
		.amdhsa_enable_private_segment 0
		.amdhsa_system_sgpr_workgroup_id_x 1
		.amdhsa_system_sgpr_workgroup_id_y 0
		.amdhsa_system_sgpr_workgroup_id_z 0
		.amdhsa_system_sgpr_workgroup_info 0
		.amdhsa_system_vgpr_workitem_id 0
		.amdhsa_next_free_vgpr 7
		.amdhsa_next_free_sgpr 16
		.amdhsa_reserve_vcc 1
		.amdhsa_float_round_mode_32 0
		.amdhsa_float_round_mode_16_64 0
		.amdhsa_float_denorm_mode_32 3
		.amdhsa_float_denorm_mode_16_64 3
		.amdhsa_dx10_clamp 1
		.amdhsa_ieee_mode 1
		.amdhsa_fp16_overflow 0
		.amdhsa_workgroup_processor_mode 1
		.amdhsa_memory_ordered 1
		.amdhsa_forward_progress 0
		.amdhsa_shared_vgpr_count 0
		.amdhsa_exception_fp_ieee_invalid_op 0
		.amdhsa_exception_fp_denorm_src 0
		.amdhsa_exception_fp_ieee_div_zero 0
		.amdhsa_exception_fp_ieee_overflow 0
		.amdhsa_exception_fp_ieee_underflow 0
		.amdhsa_exception_fp_ieee_inexact 0
		.amdhsa_exception_int_div_zero 0
	.end_amdhsa_kernel
	.section	.text._Z20warp_exchange_kernelILj256ELj1ELj32EN6common25BlockedToStripedShuffleOpEnEvPT3_j,"axG",@progbits,_Z20warp_exchange_kernelILj256ELj1ELj32EN6common25BlockedToStripedShuffleOpEnEvPT3_j,comdat
.Lfunc_end47:
	.size	_Z20warp_exchange_kernelILj256ELj1ELj32EN6common25BlockedToStripedShuffleOpEnEvPT3_j, .Lfunc_end47-_Z20warp_exchange_kernelILj256ELj1ELj32EN6common25BlockedToStripedShuffleOpEnEvPT3_j
                                        ; -- End function
	.section	.AMDGPU.csdata,"",@progbits
; Kernel info:
; codeLenInByte = 208
; NumSgprs: 18
; NumVgprs: 7
; ScratchSize: 0
; MemoryBound: 0
; FloatMode: 240
; IeeeMode: 1
; LDSByteSize: 0 bytes/workgroup (compile time only)
; SGPRBlocks: 2
; VGPRBlocks: 0
; NumSGPRsForWavesPerEU: 18
; NumVGPRsForWavesPerEU: 7
; Occupancy: 16
; WaveLimiterHint : 0
; COMPUTE_PGM_RSRC2:SCRATCH_EN: 0
; COMPUTE_PGM_RSRC2:USER_SGPR: 15
; COMPUTE_PGM_RSRC2:TRAP_HANDLER: 0
; COMPUTE_PGM_RSRC2:TGID_X_EN: 1
; COMPUTE_PGM_RSRC2:TGID_Y_EN: 0
; COMPUTE_PGM_RSRC2:TGID_Z_EN: 0
; COMPUTE_PGM_RSRC2:TIDIG_COMP_CNT: 0
	.section	.text._Z20warp_exchange_kernelILj256ELj4ELj16EN6common25BlockedToStripedShuffleOpEnEvPT3_j,"axG",@progbits,_Z20warp_exchange_kernelILj256ELj4ELj16EN6common25BlockedToStripedShuffleOpEnEvPT3_j,comdat
	.protected	_Z20warp_exchange_kernelILj256ELj4ELj16EN6common25BlockedToStripedShuffleOpEnEvPT3_j ; -- Begin function _Z20warp_exchange_kernelILj256ELj4ELj16EN6common25BlockedToStripedShuffleOpEnEvPT3_j
	.globl	_Z20warp_exchange_kernelILj256ELj4ELj16EN6common25BlockedToStripedShuffleOpEnEvPT3_j
	.p2align	8
	.type	_Z20warp_exchange_kernelILj256ELj4ELj16EN6common25BlockedToStripedShuffleOpEnEvPT3_j,@function
_Z20warp_exchange_kernelILj256ELj4ELj16EN6common25BlockedToStripedShuffleOpEnEvPT3_j: ; @_Z20warp_exchange_kernelILj256ELj4ELj16EN6common25BlockedToStripedShuffleOpEnEvPT3_j
; %bb.0:
	s_load_b32 s26, s[0:1], 0x8
	v_lshlrev_b32_e32 v16, 2, v0
	s_delay_alu instid0(VALU_DEP_1)
	v_or_b32_e32 v12, 1, v16
	v_or_b32_e32 v8, 2, v16
	;; [unrolled: 1-line block ×3, first 2 shown]
	s_waitcnt lgkmcnt(0)
	s_cmp_eq_u32 s26, 0
	s_cbranch_scc1 .LBB48_4
; %bb.1:
	v_mbcnt_lo_u32_b32 v0, -1, 0
	v_dual_mov_b32 v17, 0 :: v_dual_mov_b32 v2, 0
	s_delay_alu instid0(VALU_DEP_2)
	v_dual_mov_b32 v3, 0 :: v_dual_and_b32 v6, 16, v0
	v_add_nc_u32_e32 v5, -1, v0
	v_add_nc_u32_e32 v7, 12, v0
	v_bfe_u32 v11, v0, 2, 2
	v_add_nc_u32_e32 v10, 4, v0
	v_and_b32_e32 v1, 3, v0
	v_and_b32_e32 v14, 3, v5
	v_lshlrev_b32_e32 v9, 2, v0
	v_lshrrev_b32_e32 v0, 2, v0
	v_cmp_eq_u32_e64 s13, 1, v11
	v_cmp_eq_u32_e64 s14, 2, v11
	;; [unrolled: 1-line block ×5, first 2 shown]
	v_mov_b32_e32 v14, v17
	v_and_or_b32 v5, v7, 15, v6
	v_xor_b32_e32 v7, 2, v11
	v_and_or_b32 v6, v10, 15, v6
	v_add_nc_u32_e32 v0, -1, v0
	v_cmp_eq_u32_e64 s16, 3, v11
	s_delay_alu instid0(VALU_DEP_4) | instskip(NEXT) | instid1(VALU_DEP_4)
	v_dual_mov_b32 v11, v17 :: v_dual_add_nc_u32 v10, -1, v7
	v_lshlrev_b32_e32 v19, 2, v6
	s_delay_alu instid0(VALU_DEP_4)
	v_and_b32_e32 v0, 3, v0
	v_lshlrev_b32_e32 v5, 2, v5
	v_cmp_eq_u32_e64 s20, 1, v7
	v_and_b32_e32 v6, 3, v10
	v_cmp_eq_u32_e64 s21, 2, v7
	v_cmp_eq_u32_e64 s22, 3, v7
	v_mov_b32_e32 v7, v17
	v_mov_b32_e32 v10, v17
	v_cmp_eq_u32_e64 s23, 1, v6
	v_cmp_eq_u32_e64 s24, 2, v6
	;; [unrolled: 1-line block ×3, first 2 shown]
	v_mov_b32_e32 v6, v17
	v_xor_b32_e32 v13, 2, v1
	v_cmp_eq_u32_e32 vcc_lo, 1, v1
	v_cmp_eq_u32_e64 s2, 2, v1
	v_cmp_eq_u32_e64 s3, 3, v1
	s_delay_alu instid0(VALU_DEP_4)
	v_add_nc_u32_e32 v15, -1, v13
	v_cmp_eq_u32_e64 s7, 1, v13
	v_cmp_eq_u32_e64 s8, 2, v13
	;; [unrolled: 1-line block ×3, first 2 shown]
	v_mov_b32_e32 v13, v17
	v_and_b32_e32 v15, 3, v15
	s_delay_alu instid0(VALU_DEP_1)
	v_cmp_eq_u32_e64 s10, 1, v15
	v_cmp_eq_u32_e64 s11, 2, v15
	;; [unrolled: 1-line block ×3, first 2 shown]
	v_mov_b32_e32 v15, v17
	v_cmp_eq_u32_e64 s17, 1, v0
	v_cmp_eq_u32_e64 s18, 2, v0
	;; [unrolled: 1-line block ×3, first 2 shown]
	v_dual_mov_b32 v0, v16 :: v_dual_mov_b32 v1, v17
	v_xor_b32_e32 v18, 32, v9
	v_mov_b32_e32 v9, v17
.LBB48_2:                               ; =>This Inner Loop Header: Depth=1
	s_waitcnt lgkmcnt(9)
	v_mov_b32_dpp v14, v14 quad_perm:[3,0,1,2] row_mask:0xf bank_mask:0xf
	v_mov_b32_dpp v13, v13 quad_perm:[3,0,1,2] row_mask:0xf bank_mask:0xf
	s_waitcnt lgkmcnt(8)
	v_mov_b32_dpp v15, v15 quad_perm:[3,0,1,2] row_mask:0xf bank_mask:0xf
	s_waitcnt lgkmcnt(5)
	v_mov_b32_dpp v10, v10 quad_perm:[2,3,0,1] row_mask:0xf bank_mask:0xf
	v_mov_b32_dpp v12, v12 quad_perm:[3,0,1,2] row_mask:0xf bank_mask:0xf
	v_cndmask_b32_e64 v23, v2, v14, s4
	v_mov_b32_dpp v9, v9 quad_perm:[2,3,0,1] row_mask:0xf bank_mask:0xf
	s_waitcnt lgkmcnt(4)
	v_mov_b32_dpp v11, v11 quad_perm:[2,3,0,1] row_mask:0xf bank_mask:0xf
	s_waitcnt lgkmcnt(1)
	v_mov_b32_dpp v6, v6 quad_perm:[1,2,3,0] row_mask:0xf bank_mask:0xf
	v_cndmask_b32_e64 v22, v3, v15, s4
	v_cndmask_b32_e64 v23, v23, v10, s5
	;; [unrolled: 1-line block ×5, first 2 shown]
	v_mov_b32_dpp v8, v8 quad_perm:[2,3,0,1] row_mask:0xf bank_mask:0xf
	v_mov_b32_dpp v17, v17 quad_perm:[1,2,3,0] row_mask:0xf bank_mask:0xf
	v_dual_cndmask_b32 v20, v2, v14 :: v_dual_cndmask_b32 v21, v3, v15
	s_waitcnt lgkmcnt(0)
	v_mov_b32_dpp v7, v7 quad_perm:[1,2,3,0] row_mask:0xf bank_mask:0xf
	v_cndmask_b32_e32 v24, v0, v12, vcc_lo
	v_cndmask_b32_e64 v22, v22, v11, s5
	v_cndmask_b32_e64 v26, v0, v12, s4
	;; [unrolled: 1-line block ×11, first 2 shown]
	v_cndmask_b32_e32 v1, v1, v13, vcc_lo
	v_cndmask_b32_e64 v0, v0, v12, s10
	v_mov_b32_dpp v4, v4 quad_perm:[1,2,3,0] row_mask:0xf bank_mask:0xf
	v_cndmask_b32_e64 v20, v20, v10, s2
	v_cndmask_b32_e64 v21, v21, v11, s2
	;; [unrolled: 1-line block ×14, first 2 shown]
	v_mov_b32_dpp v8, v23 quad_perm:[1,2,3,0] row_mask:0xf bank_mask:0xf
	v_cndmask_b32_e64 v20, v20, v6, s3
	v_cndmask_b32_e64 v21, v21, v7, s3
	;; [unrolled: 1-line block ×7, first 2 shown]
	v_mov_b32_dpp v7, v22 quad_perm:[1,2,3,0] row_mask:0xf bank_mask:0xf
	v_mov_b32_dpp v10, v28 quad_perm:[2,3,0,1] row_mask:0xf bank_mask:0xf
	ds_bpermute_b32 v23, v5, v8
	v_mov_b32_dpp v8, v25 quad_perm:[1,2,3,0] row_mask:0xf bank_mask:0xf
	v_cndmask_b32_e64 v26, v26, v4, s6
	v_mov_b32_dpp v12, v27 quad_perm:[2,3,0,1] row_mask:0xf bank_mask:0xf
	ds_bpermute_b32 v22, v5, v7
	ds_bpermute_b32 v27, v18, v10
	v_mov_b32_dpp v10, v11 quad_perm:[2,3,0,1] row_mask:0xf bank_mask:0xf
	v_mov_b32_dpp v11, v15 quad_perm:[2,3,0,1] row_mask:0xf bank_mask:0xf
	ds_bpermute_b32 v25, v5, v8
	v_mov_b32_dpp v7, v26 quad_perm:[1,2,3,0] row_mask:0xf bank_mask:0xf
	v_mov_b32_dpp v2, v2 quad_perm:[3,0,1,2] row_mask:0xf bank_mask:0xf
	;; [unrolled: 1-line block ×3, first 2 shown]
	ds_bpermute_b32 v26, v18, v12
	v_mov_b32_dpp v6, v6 quad_perm:[3,0,1,2] row_mask:0xf bank_mask:0xf
	ds_bpermute_b32 v29, v18, v11
	v_cndmask_b32_e64 v0, v0, v4, s12
	ds_bpermute_b32 v3, v19, v3
	ds_bpermute_b32 v2, v19, v2
	;; [unrolled: 1-line block ×3, first 2 shown]
	v_cndmask_b32_e64 v1, v1, v9, s2
	ds_bpermute_b32 v31, v19, v6
	v_mov_b32_dpp v0, v0 quad_perm:[3,0,1,2] row_mask:0xf bank_mask:0xf
	ds_bpermute_b32 v30, v18, v10
	s_waitcnt lgkmcnt(10)
	v_cndmask_b32_e64 v8, v20, v23, s17
	v_cndmask_b32_e64 v1, v1, v17, s3
	s_waitcnt lgkmcnt(9)
	v_cndmask_b32_e64 v7, v21, v22, s17
	ds_bpermute_b32 v0, v19, v0
	v_cndmask_b32_e64 v9, v21, v22, s20
	v_cndmask_b32_e64 v24, v24, v4, s3
	s_waitcnt lgkmcnt(8)
	v_cndmask_b32_e64 v11, v1, v25, s20
	v_cndmask_b32_e64 v10, v20, v23, s20
	v_cndmask_b32_e64 v12, v21, v22, s23
	s_waitcnt lgkmcnt(7)
	v_cndmask_b32_e64 v6, v7, v26, s18
	;; [unrolled: 4-line block ×3, first 2 shown]
	v_cndmask_b32_e64 v13, v20, v23, s23
	s_waitcnt lgkmcnt(5)
	v_cndmask_b32_e64 v4, v6, v3, s19
	s_waitcnt lgkmcnt(4)
	v_cndmask_b32_e64 v6, v7, v2, s19
	v_cndmask_b32_e64 v7, v1, v25, s17
	s_waitcnt lgkmcnt(3)
	v_cndmask_b32_e64 v8, v24, v28, s17
	;; [unrolled: 3-line block ×3, first 2 shown]
	v_cndmask_b32_e64 v11, v24, v28, s20
	v_cndmask_b32_e64 v14, v1, v25, s23
	v_cndmask_b32_e64 v15, v24, v28, s23
	v_cndmask_b32_e64 v7, v7, v29, s18
	s_waitcnt lgkmcnt(1)
	v_cndmask_b32_e64 v8, v8, v30, s18
	v_cndmask_b32_e64 v10, v10, v27, s21
	;; [unrolled: 1-line block ×8, first 2 shown]
	s_waitcnt lgkmcnt(0)
	v_cndmask_b32_e64 v8, v8, v0, s19
	v_cndmask_b32_e64 v10, v10, v2, s22
	;; [unrolled: 1-line block ×7, first 2 shown]
	ds_bpermute_b32 v12, v19, v8
	ds_bpermute_b32 v13, v19, v7
	;; [unrolled: 1-line block ×12, first 2 shown]
	v_cndmask_b32_e64 v1, v1, v25, s13
	v_cndmask_b32_e64 v24, v24, v28, s13
	;; [unrolled: 1-line block ×4, first 2 shown]
	s_add_i32 s26, s26, -1
	v_cndmask_b32_e64 v1, v1, v29, s14
	v_cndmask_b32_e64 v22, v24, v30, s14
	;; [unrolled: 1-line block ×4, first 2 shown]
	s_cmp_eq_u32 s26, 0
	v_cndmask_b32_e64 v1, v1, v31, s16
	v_cndmask_b32_e64 v0, v22, v0, s16
	;; [unrolled: 1-line block ×4, first 2 shown]
	; wave barrier
	s_cbranch_scc0 .LBB48_2
; %bb.3:
	s_waitcnt lgkmcnt(2)
	v_mov_b32_e32 v5, v17
	s_branch .LBB48_5
.LBB48_4:
	v_dual_mov_b32 v17, 0 :: v_dual_mov_b32 v6, 0
	v_dual_mov_b32 v7, 0 :: v_dual_mov_b32 v2, 0
	;; [unrolled: 1-line block ×3, first 2 shown]
	s_delay_alu instid0(VALU_DEP_3)
	v_dual_mov_b32 v13, v17 :: v_dual_mov_b32 v10, 0
	v_dual_mov_b32 v9, v17 :: v_dual_mov_b32 v0, v16
	v_mov_b32_e32 v5, v17
	v_mov_b32_e32 v15, 0
	;; [unrolled: 1-line block ×4, first 2 shown]
.LBB48_5:
	s_load_b64 s[0:1], s[0:1], 0x0
	v_lshl_or_b32 v16, s15, 10, v16
	v_mov_b32_e32 v17, 0
	s_delay_alu instid0(VALU_DEP_1) | instskip(SKIP_1) | instid1(VALU_DEP_1)
	v_lshlrev_b64 v[16:17], 4, v[16:17]
	s_waitcnt lgkmcnt(0)
	v_add_co_u32 v16, vcc_lo, s0, v16
	s_delay_alu instid0(VALU_DEP_2)
	v_add_co_ci_u32_e32 v17, vcc_lo, s1, v17, vcc_lo
	s_clause 0x3
	global_store_b128 v[16:17], v[0:3], off
	global_store_b128 v[16:17], v[12:15], off offset:16
	global_store_b128 v[16:17], v[8:11], off offset:32
	;; [unrolled: 1-line block ×3, first 2 shown]
	s_nop 0
	s_sendmsg sendmsg(MSG_DEALLOC_VGPRS)
	s_endpgm
	.section	.rodata,"a",@progbits
	.p2align	6, 0x0
	.amdhsa_kernel _Z20warp_exchange_kernelILj256ELj4ELj16EN6common25BlockedToStripedShuffleOpEnEvPT3_j
		.amdhsa_group_segment_fixed_size 0
		.amdhsa_private_segment_fixed_size 0
		.amdhsa_kernarg_size 12
		.amdhsa_user_sgpr_count 15
		.amdhsa_user_sgpr_dispatch_ptr 0
		.amdhsa_user_sgpr_queue_ptr 0
		.amdhsa_user_sgpr_kernarg_segment_ptr 1
		.amdhsa_user_sgpr_dispatch_id 0
		.amdhsa_user_sgpr_private_segment_size 0
		.amdhsa_wavefront_size32 1
		.amdhsa_uses_dynamic_stack 0
		.amdhsa_enable_private_segment 0
		.amdhsa_system_sgpr_workgroup_id_x 1
		.amdhsa_system_sgpr_workgroup_id_y 0
		.amdhsa_system_sgpr_workgroup_id_z 0
		.amdhsa_system_sgpr_workgroup_info 0
		.amdhsa_system_vgpr_workitem_id 0
		.amdhsa_next_free_vgpr 36
		.amdhsa_next_free_sgpr 27
		.amdhsa_reserve_vcc 1
		.amdhsa_float_round_mode_32 0
		.amdhsa_float_round_mode_16_64 0
		.amdhsa_float_denorm_mode_32 3
		.amdhsa_float_denorm_mode_16_64 3
		.amdhsa_dx10_clamp 1
		.amdhsa_ieee_mode 1
		.amdhsa_fp16_overflow 0
		.amdhsa_workgroup_processor_mode 1
		.amdhsa_memory_ordered 1
		.amdhsa_forward_progress 0
		.amdhsa_shared_vgpr_count 0
		.amdhsa_exception_fp_ieee_invalid_op 0
		.amdhsa_exception_fp_denorm_src 0
		.amdhsa_exception_fp_ieee_div_zero 0
		.amdhsa_exception_fp_ieee_overflow 0
		.amdhsa_exception_fp_ieee_underflow 0
		.amdhsa_exception_fp_ieee_inexact 0
		.amdhsa_exception_int_div_zero 0
	.end_amdhsa_kernel
	.section	.text._Z20warp_exchange_kernelILj256ELj4ELj16EN6common25BlockedToStripedShuffleOpEnEvPT3_j,"axG",@progbits,_Z20warp_exchange_kernelILj256ELj4ELj16EN6common25BlockedToStripedShuffleOpEnEvPT3_j,comdat
.Lfunc_end48:
	.size	_Z20warp_exchange_kernelILj256ELj4ELj16EN6common25BlockedToStripedShuffleOpEnEvPT3_j, .Lfunc_end48-_Z20warp_exchange_kernelILj256ELj4ELj16EN6common25BlockedToStripedShuffleOpEnEvPT3_j
                                        ; -- End function
	.section	.AMDGPU.csdata,"",@progbits
; Kernel info:
; codeLenInByte = 1796
; NumSgprs: 29
; NumVgprs: 36
; ScratchSize: 0
; MemoryBound: 0
; FloatMode: 240
; IeeeMode: 1
; LDSByteSize: 0 bytes/workgroup (compile time only)
; SGPRBlocks: 3
; VGPRBlocks: 4
; NumSGPRsForWavesPerEU: 29
; NumVGPRsForWavesPerEU: 36
; Occupancy: 16
; WaveLimiterHint : 0
; COMPUTE_PGM_RSRC2:SCRATCH_EN: 0
; COMPUTE_PGM_RSRC2:USER_SGPR: 15
; COMPUTE_PGM_RSRC2:TRAP_HANDLER: 0
; COMPUTE_PGM_RSRC2:TGID_X_EN: 1
; COMPUTE_PGM_RSRC2:TGID_Y_EN: 0
; COMPUTE_PGM_RSRC2:TGID_Z_EN: 0
; COMPUTE_PGM_RSRC2:TIDIG_COMP_CNT: 0
	.section	.text._Z20warp_exchange_kernelILj256ELj4ELj32EN6common25BlockedToStripedShuffleOpEnEvPT3_j,"axG",@progbits,_Z20warp_exchange_kernelILj256ELj4ELj32EN6common25BlockedToStripedShuffleOpEnEvPT3_j,comdat
	.protected	_Z20warp_exchange_kernelILj256ELj4ELj32EN6common25BlockedToStripedShuffleOpEnEvPT3_j ; -- Begin function _Z20warp_exchange_kernelILj256ELj4ELj32EN6common25BlockedToStripedShuffleOpEnEvPT3_j
	.globl	_Z20warp_exchange_kernelILj256ELj4ELj32EN6common25BlockedToStripedShuffleOpEnEvPT3_j
	.p2align	8
	.type	_Z20warp_exchange_kernelILj256ELj4ELj32EN6common25BlockedToStripedShuffleOpEnEvPT3_j,@function
_Z20warp_exchange_kernelILj256ELj4ELj32EN6common25BlockedToStripedShuffleOpEnEvPT3_j: ; @_Z20warp_exchange_kernelILj256ELj4ELj32EN6common25BlockedToStripedShuffleOpEnEvPT3_j
; %bb.0:
	s_load_b32 s5, s[0:1], 0x8
	v_dual_mov_b32 v17, 0 :: v_dual_lshlrev_b32 v16, 2, v0
	s_delay_alu instid0(VALU_DEP_1)
	v_or_b32_e32 v22, 1, v16
	v_or_b32_e32 v20, 2, v16
	;; [unrolled: 1-line block ×3, first 2 shown]
	s_waitcnt lgkmcnt(0)
	s_cmp_eq_u32 s5, 0
	s_cbranch_scc1 .LBB49_27
; %bb.1:
	v_mbcnt_lo_u32_b32 v0, -1, 0
	v_dual_mov_b32 v29, 0 :: v_dual_mov_b32 v32, 0
	v_dual_mov_b32 v31, 0 :: v_dual_mov_b32 v34, 0
	s_delay_alu instid0(VALU_DEP_3) | instskip(SKIP_2) | instid1(VALU_DEP_3)
	v_dual_mov_b32 v30, 0 :: v_dual_and_b32 v1, 3, v0
	v_dual_mov_b32 v24, 0 :: v_dual_and_b32 v25, 28, v0
	v_dual_mov_b32 v33, 0 :: v_dual_mov_b32 v36, 0
	v_cmp_eq_u32_e32 vcc_lo, 0, v1
	v_cmp_eq_u32_e64 s2, 1, v1
	v_cmp_eq_u32_e64 s3, 2, v1
	;; [unrolled: 1-line block ×3, first 2 shown]
	v_or_b32_e32 v26, 32, v25
	v_or_b32_e32 v27, 64, v25
	;; [unrolled: 1-line block ×3, first 2 shown]
	v_mov_b32_e32 v19, 0
	v_mov_b32_e32 v23, 0
	;; [unrolled: 1-line block ×4, first 2 shown]
	s_branch .LBB49_3
.LBB49_2:                               ;   in Loop: Header=BB49_3 Depth=1
	s_or_b32 exec_lo, exec_lo, s6
	s_waitcnt lgkmcnt(3)
	v_dual_mov_b32 v18, v12 :: v_dual_mov_b32 v17, v13
	v_dual_mov_b32 v29, v14 :: v_dual_mov_b32 v30, v15
	s_waitcnt lgkmcnt(1)
	v_dual_mov_b32 v20, v8 :: v_dual_mov_b32 v31, v9
	v_dual_mov_b32 v32, v10 :: v_dual_mov_b32 v33, v11
	;; [unrolled: 1-line block ×4, first 2 shown]
	s_waitcnt lgkmcnt(0)
	v_dual_mov_b32 v21, v0 :: v_dual_mov_b32 v34, v1
	v_dual_mov_b32 v35, v2 :: v_dual_mov_b32 v36, v3
	s_add_i32 s5, s5, -1
	s_delay_alu instid0(SALU_CYCLE_1)
	s_cmp_lg_u32 s5, 0
	; wave barrier
	s_cbranch_scc0 .LBB49_28
.LBB49_3:                               ; =>This Inner Loop Header: Depth=1
	ds_bpermute_b32 v0, v25, v21
	ds_bpermute_b32 v1, v25, v34
	;; [unrolled: 1-line block ×4, first 2 shown]
	s_and_saveexec_b32 s6, vcc_lo
	s_delay_alu instid0(SALU_CYCLE_1)
	s_or_b32 exec_lo, exec_lo, s6
	ds_bpermute_b32 v4, v25, v22
	ds_bpermute_b32 v5, v25, v19
	;; [unrolled: 1-line block ×4, first 2 shown]
	s_and_saveexec_b32 s6, s2
	s_cbranch_execz .LBB49_5
; %bb.4:                                ;   in Loop: Header=BB49_3 Depth=1
	s_waitcnt lgkmcnt(2)
	v_dual_mov_b32 v0, v4 :: v_dual_mov_b32 v1, v5
	s_waitcnt lgkmcnt(0)
	v_dual_mov_b32 v2, v6 :: v_dual_mov_b32 v3, v7
.LBB49_5:                               ;   in Loop: Header=BB49_3 Depth=1
	s_or_b32 exec_lo, exec_lo, s6
	s_waitcnt lgkmcnt(3)
	ds_bpermute_b32 v4, v25, v20
	s_waitcnt lgkmcnt(3)
	ds_bpermute_b32 v5, v25, v31
	s_waitcnt lgkmcnt(3)
	ds_bpermute_b32 v6, v25, v32
	s_waitcnt lgkmcnt(3)
	ds_bpermute_b32 v7, v25, v33
	s_and_saveexec_b32 s6, s3
	s_cbranch_execz .LBB49_7
; %bb.6:                                ;   in Loop: Header=BB49_3 Depth=1
	s_waitcnt lgkmcnt(2)
	v_dual_mov_b32 v0, v4 :: v_dual_mov_b32 v1, v5
	s_waitcnt lgkmcnt(0)
	v_dual_mov_b32 v2, v6 :: v_dual_mov_b32 v3, v7
.LBB49_7:                               ;   in Loop: Header=BB49_3 Depth=1
	s_or_b32 exec_lo, exec_lo, s6
	s_waitcnt lgkmcnt(3)
	ds_bpermute_b32 v4, v25, v18
	s_waitcnt lgkmcnt(3)
	ds_bpermute_b32 v5, v25, v17
	s_waitcnt lgkmcnt(3)
	ds_bpermute_b32 v6, v25, v29
	s_waitcnt lgkmcnt(3)
	ds_bpermute_b32 v7, v25, v30
	;; [unrolled: 17-line block ×3, first 2 shown]
	s_and_saveexec_b32 s6, vcc_lo
	s_delay_alu instid0(SALU_CYCLE_1)
	s_or_b32 exec_lo, exec_lo, s6
	ds_bpermute_b32 v8, v26, v22
	ds_bpermute_b32 v9, v26, v19
	;; [unrolled: 1-line block ×4, first 2 shown]
	s_and_saveexec_b32 s6, s2
	s_cbranch_execz .LBB49_11
; %bb.10:                               ;   in Loop: Header=BB49_3 Depth=1
	s_waitcnt lgkmcnt(2)
	v_dual_mov_b32 v4, v8 :: v_dual_mov_b32 v5, v9
	s_waitcnt lgkmcnt(0)
	v_dual_mov_b32 v6, v10 :: v_dual_mov_b32 v7, v11
.LBB49_11:                              ;   in Loop: Header=BB49_3 Depth=1
	s_or_b32 exec_lo, exec_lo, s6
	s_waitcnt lgkmcnt(3)
	ds_bpermute_b32 v8, v26, v20
	s_waitcnt lgkmcnt(3)
	ds_bpermute_b32 v9, v26, v31
	s_waitcnt lgkmcnt(3)
	ds_bpermute_b32 v10, v26, v32
	s_waitcnt lgkmcnt(3)
	ds_bpermute_b32 v11, v26, v33
	s_and_saveexec_b32 s6, s3
	s_cbranch_execz .LBB49_13
; %bb.12:                               ;   in Loop: Header=BB49_3 Depth=1
	s_waitcnt lgkmcnt(2)
	v_dual_mov_b32 v4, v8 :: v_dual_mov_b32 v5, v9
	s_waitcnt lgkmcnt(0)
	v_dual_mov_b32 v6, v10 :: v_dual_mov_b32 v7, v11
.LBB49_13:                              ;   in Loop: Header=BB49_3 Depth=1
	s_or_b32 exec_lo, exec_lo, s6
	s_waitcnt lgkmcnt(3)
	ds_bpermute_b32 v8, v26, v18
	s_waitcnt lgkmcnt(3)
	ds_bpermute_b32 v9, v26, v17
	s_waitcnt lgkmcnt(3)
	ds_bpermute_b32 v10, v26, v29
	s_waitcnt lgkmcnt(3)
	ds_bpermute_b32 v11, v26, v30
	;; [unrolled: 17-line block ×3, first 2 shown]
	s_and_saveexec_b32 s6, vcc_lo
	s_delay_alu instid0(SALU_CYCLE_1)
	s_or_b32 exec_lo, exec_lo, s6
	ds_bpermute_b32 v12, v27, v22
	ds_bpermute_b32 v13, v27, v19
	;; [unrolled: 1-line block ×4, first 2 shown]
	s_and_saveexec_b32 s6, s2
	s_cbranch_execz .LBB49_17
; %bb.16:                               ;   in Loop: Header=BB49_3 Depth=1
	s_waitcnt lgkmcnt(2)
	v_dual_mov_b32 v8, v12 :: v_dual_mov_b32 v9, v13
	s_waitcnt lgkmcnt(0)
	v_dual_mov_b32 v10, v14 :: v_dual_mov_b32 v11, v15
.LBB49_17:                              ;   in Loop: Header=BB49_3 Depth=1
	s_or_b32 exec_lo, exec_lo, s6
	s_waitcnt lgkmcnt(3)
	ds_bpermute_b32 v12, v27, v20
	s_waitcnt lgkmcnt(3)
	ds_bpermute_b32 v13, v27, v31
	s_waitcnt lgkmcnt(3)
	ds_bpermute_b32 v14, v27, v32
	s_waitcnt lgkmcnt(3)
	ds_bpermute_b32 v15, v27, v33
	s_and_saveexec_b32 s6, s3
	s_cbranch_execz .LBB49_19
; %bb.18:                               ;   in Loop: Header=BB49_3 Depth=1
	s_waitcnt lgkmcnt(2)
	v_dual_mov_b32 v8, v12 :: v_dual_mov_b32 v9, v13
	s_waitcnt lgkmcnt(0)
	v_dual_mov_b32 v10, v14 :: v_dual_mov_b32 v11, v15
.LBB49_19:                              ;   in Loop: Header=BB49_3 Depth=1
	s_or_b32 exec_lo, exec_lo, s6
	s_waitcnt lgkmcnt(3)
	ds_bpermute_b32 v12, v27, v18
	s_waitcnt lgkmcnt(3)
	ds_bpermute_b32 v13, v27, v17
	s_waitcnt lgkmcnt(3)
	ds_bpermute_b32 v14, v27, v29
	s_waitcnt lgkmcnt(3)
	ds_bpermute_b32 v15, v27, v30
	;; [unrolled: 17-line block ×3, first 2 shown]
	s_and_saveexec_b32 s6, vcc_lo
	s_delay_alu instid0(SALU_CYCLE_1)
	s_or_b32 exec_lo, exec_lo, s6
	ds_bpermute_b32 v21, v28, v22
	ds_bpermute_b32 v22, v28, v19
	;; [unrolled: 1-line block ×4, first 2 shown]
	s_and_saveexec_b32 s6, s2
	s_cbranch_execz .LBB49_23
; %bb.22:                               ;   in Loop: Header=BB49_3 Depth=1
	s_waitcnt lgkmcnt(2)
	v_dual_mov_b32 v12, v21 :: v_dual_mov_b32 v13, v22
	s_waitcnt lgkmcnt(0)
	v_dual_mov_b32 v14, v23 :: v_dual_mov_b32 v15, v24
.LBB49_23:                              ;   in Loop: Header=BB49_3 Depth=1
	s_or_b32 exec_lo, exec_lo, s6
	ds_bpermute_b32 v19, v28, v20
	ds_bpermute_b32 v20, v28, v31
	s_waitcnt lgkmcnt(5)
	ds_bpermute_b32 v21, v28, v32
	s_waitcnt lgkmcnt(5)
	ds_bpermute_b32 v22, v28, v33
	s_and_saveexec_b32 s6, s3
	s_cbranch_execz .LBB49_25
; %bb.24:                               ;   in Loop: Header=BB49_3 Depth=1
	s_waitcnt lgkmcnt(2)
	v_dual_mov_b32 v12, v19 :: v_dual_mov_b32 v13, v20
	s_waitcnt lgkmcnt(0)
	v_dual_mov_b32 v14, v21 :: v_dual_mov_b32 v15, v22
.LBB49_25:                              ;   in Loop: Header=BB49_3 Depth=1
	s_or_b32 exec_lo, exec_lo, s6
	ds_bpermute_b32 v18, v28, v18
	s_waitcnt lgkmcnt(4)
	ds_bpermute_b32 v19, v28, v17
	s_waitcnt lgkmcnt(4)
	ds_bpermute_b32 v20, v28, v29
	s_waitcnt lgkmcnt(4)
	ds_bpermute_b32 v21, v28, v30
	s_and_saveexec_b32 s6, s4
	s_cbranch_execz .LBB49_2
; %bb.26:                               ;   in Loop: Header=BB49_3 Depth=1
	s_waitcnt lgkmcnt(2)
	v_dual_mov_b32 v12, v18 :: v_dual_mov_b32 v13, v19
	s_waitcnt lgkmcnt(0)
	v_dual_mov_b32 v14, v20 :: v_dual_mov_b32 v15, v21
	s_branch .LBB49_2
.LBB49_27:
	v_dual_mov_b32 v2, 0 :: v_dual_mov_b32 v23, v17
	v_dual_mov_b32 v3, 0 :: v_dual_mov_b32 v14, 0
	;; [unrolled: 1-line block ×3, first 2 shown]
	v_mov_b32_e32 v19, v17
	v_dual_mov_b32 v15, 0 :: v_dual_mov_b32 v0, v16
	s_delay_alu instid0(VALU_DEP_4)
	v_mov_b32_e32 v7, v3
	v_dual_mov_b32 v1, v17 :: v_dual_mov_b32 v8, v20
	v_dual_mov_b32 v6, v2 :: v_dual_mov_b32 v11, v3
	;; [unrolled: 1-line block ×4, first 2 shown]
	v_mov_b32_e32 v13, v19
.LBB49_28:
	s_load_b64 s[0:1], s[0:1], 0x0
	v_lshl_or_b32 v16, s15, 10, v16
	v_mov_b32_e32 v17, 0
	s_delay_alu instid0(VALU_DEP_1) | instskip(SKIP_1) | instid1(VALU_DEP_1)
	v_lshlrev_b64 v[16:17], 4, v[16:17]
	s_waitcnt lgkmcnt(0)
	v_add_co_u32 v16, vcc_lo, s0, v16
	s_delay_alu instid0(VALU_DEP_2)
	v_add_co_ci_u32_e32 v17, vcc_lo, s1, v17, vcc_lo
	s_clause 0x3
	global_store_b128 v[16:17], v[0:3], off
	global_store_b128 v[16:17], v[4:7], off offset:16
	global_store_b128 v[16:17], v[8:11], off offset:32
	;; [unrolled: 1-line block ×3, first 2 shown]
	s_nop 0
	s_sendmsg sendmsg(MSG_DEALLOC_VGPRS)
	s_endpgm
	.section	.rodata,"a",@progbits
	.p2align	6, 0x0
	.amdhsa_kernel _Z20warp_exchange_kernelILj256ELj4ELj32EN6common25BlockedToStripedShuffleOpEnEvPT3_j
		.amdhsa_group_segment_fixed_size 0
		.amdhsa_private_segment_fixed_size 0
		.amdhsa_kernarg_size 12
		.amdhsa_user_sgpr_count 15
		.amdhsa_user_sgpr_dispatch_ptr 0
		.amdhsa_user_sgpr_queue_ptr 0
		.amdhsa_user_sgpr_kernarg_segment_ptr 1
		.amdhsa_user_sgpr_dispatch_id 0
		.amdhsa_user_sgpr_private_segment_size 0
		.amdhsa_wavefront_size32 1
		.amdhsa_uses_dynamic_stack 0
		.amdhsa_enable_private_segment 0
		.amdhsa_system_sgpr_workgroup_id_x 1
		.amdhsa_system_sgpr_workgroup_id_y 0
		.amdhsa_system_sgpr_workgroup_id_z 0
		.amdhsa_system_sgpr_workgroup_info 0
		.amdhsa_system_vgpr_workitem_id 0
		.amdhsa_next_free_vgpr 37
		.amdhsa_next_free_sgpr 16
		.amdhsa_reserve_vcc 1
		.amdhsa_float_round_mode_32 0
		.amdhsa_float_round_mode_16_64 0
		.amdhsa_float_denorm_mode_32 3
		.amdhsa_float_denorm_mode_16_64 3
		.amdhsa_dx10_clamp 1
		.amdhsa_ieee_mode 1
		.amdhsa_fp16_overflow 0
		.amdhsa_workgroup_processor_mode 1
		.amdhsa_memory_ordered 1
		.amdhsa_forward_progress 0
		.amdhsa_shared_vgpr_count 0
		.amdhsa_exception_fp_ieee_invalid_op 0
		.amdhsa_exception_fp_denorm_src 0
		.amdhsa_exception_fp_ieee_div_zero 0
		.amdhsa_exception_fp_ieee_overflow 0
		.amdhsa_exception_fp_ieee_underflow 0
		.amdhsa_exception_fp_ieee_inexact 0
		.amdhsa_exception_int_div_zero 0
	.end_amdhsa_kernel
	.section	.text._Z20warp_exchange_kernelILj256ELj4ELj32EN6common25BlockedToStripedShuffleOpEnEvPT3_j,"axG",@progbits,_Z20warp_exchange_kernelILj256ELj4ELj32EN6common25BlockedToStripedShuffleOpEnEvPT3_j,comdat
.Lfunc_end49:
	.size	_Z20warp_exchange_kernelILj256ELj4ELj32EN6common25BlockedToStripedShuffleOpEnEvPT3_j, .Lfunc_end49-_Z20warp_exchange_kernelILj256ELj4ELj32EN6common25BlockedToStripedShuffleOpEnEvPT3_j
                                        ; -- End function
	.section	.AMDGPU.csdata,"",@progbits
; Kernel info:
; codeLenInByte = 1592
; NumSgprs: 18
; NumVgprs: 37
; ScratchSize: 0
; MemoryBound: 0
; FloatMode: 240
; IeeeMode: 1
; LDSByteSize: 0 bytes/workgroup (compile time only)
; SGPRBlocks: 2
; VGPRBlocks: 4
; NumSGPRsForWavesPerEU: 18
; NumVGPRsForWavesPerEU: 37
; Occupancy: 16
; WaveLimiterHint : 0
; COMPUTE_PGM_RSRC2:SCRATCH_EN: 0
; COMPUTE_PGM_RSRC2:USER_SGPR: 15
; COMPUTE_PGM_RSRC2:TRAP_HANDLER: 0
; COMPUTE_PGM_RSRC2:TGID_X_EN: 1
; COMPUTE_PGM_RSRC2:TGID_Y_EN: 0
; COMPUTE_PGM_RSRC2:TGID_Z_EN: 0
; COMPUTE_PGM_RSRC2:TIDIG_COMP_CNT: 0
	.section	.text._Z20warp_exchange_kernelILj256ELj16ELj16EN6common25BlockedToStripedShuffleOpEnEvPT3_j,"axG",@progbits,_Z20warp_exchange_kernelILj256ELj16ELj16EN6common25BlockedToStripedShuffleOpEnEvPT3_j,comdat
	.protected	_Z20warp_exchange_kernelILj256ELj16ELj16EN6common25BlockedToStripedShuffleOpEnEvPT3_j ; -- Begin function _Z20warp_exchange_kernelILj256ELj16ELj16EN6common25BlockedToStripedShuffleOpEnEvPT3_j
	.globl	_Z20warp_exchange_kernelILj256ELj16ELj16EN6common25BlockedToStripedShuffleOpEnEvPT3_j
	.p2align	8
	.type	_Z20warp_exchange_kernelILj256ELj16ELj16EN6common25BlockedToStripedShuffleOpEnEvPT3_j,@function
_Z20warp_exchange_kernelILj256ELj16ELj16EN6common25BlockedToStripedShuffleOpEnEvPT3_j: ; @_Z20warp_exchange_kernelILj256ELj16ELj16EN6common25BlockedToStripedShuffleOpEnEvPT3_j
; %bb.0:
	s_load_b32 s5, s[0:1], 0x8
	v_lshlrev_b32_e32 v64, 4, v0
	s_delay_alu instid0(VALU_DEP_1)
	v_or_b32_e32 v56, 1, v64
	v_or_b32_e32 v52, 2, v64
	;; [unrolled: 1-line block ×15, first 2 shown]
	s_waitcnt lgkmcnt(0)
	s_cmp_eq_u32 s5, 0
	s_cbranch_scc1 .LBB50_3
; %bb.1:
	v_mbcnt_lo_u32_b32 v6, -1, 0
	v_dual_mov_b32 v1, 0 :: v_dual_mov_b32 v2, 0
	s_movk_i32 s2, 0x80
	s_delay_alu instid0(VALU_DEP_2) | instskip(SKIP_1) | instid1(VALU_DEP_3)
	v_dual_mov_b32 v22, 0xc0 :: v_dual_and_b32 v7, 8, v6
	v_mov_b32_e32 v3, 0
	v_mov_b32_e32 v29, v1
	;; [unrolled: 1-line block ×3, first 2 shown]
	s_delay_alu instid0(VALU_DEP_4) | instskip(SKIP_3) | instid1(VALU_DEP_4)
	v_dual_mov_b32 v17, v1 :: v_dual_lshlrev_b32 v10, 4, v7
	v_and_b32_e32 v15, 4, v6
	v_dual_mov_b32 v47, v3 :: v_dual_mov_b32 v46, v2
	v_mov_b32_e32 v11, 0xa0
	v_xad_u32 v66, v10, s2, 0
	s_delay_alu instid0(VALU_DEP_4)
	v_lshlrev_b32_e32 v23, 4, v15
	v_cmp_eq_u32_e64 s2, 0, v15
	v_and_b32_e32 v15, 2, v6
	v_dual_mov_b32 v43, v3 :: v_dual_and_b32 v6, 1, v6
	v_mov_b32_e32 v10, 0x90
	v_mov_b32_e32 v42, v2
	s_delay_alu instid0(VALU_DEP_4) | instskip(NEXT) | instid1(VALU_DEP_4)
	v_cmp_eq_u32_e64 s3, 0, v15
	v_cmp_eq_u32_e64 s4, 0, v6
	v_dual_mov_b32 v59, v3 :: v_dual_mov_b32 v58, v2
	v_dual_mov_b32 v9, v1 :: v_dual_mov_b32 v14, 0xb0
	s_delay_alu instid0(VALU_DEP_4) | instskip(SKIP_4) | instid1(VALU_DEP_4)
	v_cndmask_b32_e64 v77, 0x80, v11, s3
	v_lshlrev_b32_e32 v11, 4, v6
	v_cndmask_b32_e64 v83, 0x80, v10, s4
	v_dual_mov_b32 v13, v1 :: v_dual_mov_b32 v18, 0xd0
	v_mov_b32_e32 v25, v1
	v_xad_u32 v81, v11, 16, 0
	v_mov_b32_e32 v11, v3
	v_mov_b32_e32 v19, 0xe0
	v_xad_u32 v70, v23, 64, 0
	v_mov_b32_e32 v23, 0x70
	v_cndmask_b32_e64 v71, 0x80, v22, s2
	v_lshlrev_b32_e32 v22, 4, v15
	v_mov_b32_e32 v10, v2
	v_cmp_eq_u32_e32 vcc_lo, 0, v7
	v_mov_b32_e32 v7, 0xf0
	v_mov_b32_e32 v65, v1
	v_dual_mov_b32 v39, v3 :: v_dual_mov_b32 v38, v2
	v_mov_b32_e32 v51, v3
	v_mov_b32_e32 v55, v3
	v_dual_cndmask_b32 v67, 0x50, v18 :: v_dual_mov_b32 v62, 0
	v_cndmask_b32_e64 v72, 0x90, v18, s2
	v_xad_u32 v75, v22, 32, 0
	v_cndmask_b32_e64 v76, 0x50, v23, s3
	v_cndmask_b32_e64 v78, 0x90, v14, s3
	;; [unrolled: 1-line block ×5, first 2 shown]
	v_mov_b32_e32 v15, v3
	v_mov_b32_e32 v23, v3
	;; [unrolled: 1-line block ×4, first 2 shown]
	v_dual_mov_b32 v35, v3 :: v_dual_mov_b32 v50, v2
	v_dual_mov_b32 v21, v1 :: v_dual_cndmask_b32 v68, 0x60, v19
	v_cndmask_b32_e64 v73, 0xa0, v19, s2
	v_cndmask_b32_e64 v79, 0xc0, v19, s3
	v_dual_mov_b32 v19, v3 :: v_dual_mov_b32 v54, v2
	v_dual_cndmask_b32 v69, 0x70, v7 :: v_dual_mov_b32 v60, v64
	v_cndmask_b32_e64 v74, 0xb0, v7, s2
	v_cndmask_b32_e64 v80, 0xd0, v7, s3
	;; [unrolled: 1-line block ×3, first 2 shown]
	v_mov_b32_e32 v7, v3
	v_dual_mov_b32 v33, v1 :: v_dual_mov_b32 v6, v2
	v_dual_mov_b32 v37, v1 :: v_dual_mov_b32 v14, v2
	;; [unrolled: 1-line block ×7, first 2 shown]
	v_mov_b32_e32 v63, 0
	v_mov_b32_e32 v61, v65
	v_cndmask_b32_e64 v65, 16, 0x90, vcc_lo
	v_cndmask_b32_e64 v87, 32, 0xa0, vcc_lo
	v_cndmask_b32_e64 v88, 16, 0x50, s2
	v_cndmask_b32_e64 v89, 16, 48, s3
	;; [unrolled: 1-line block ×3, first 2 shown]
	v_cndmask_b32_e64 v91, 48, 0xb0, vcc_lo
	v_cndmask_b32_e64 v92, 64, 0xc0, vcc_lo
	v_cndmask_b32_e64 v93, 32, 0x60, s2
	v_cndmask_b32_e64 v94, 48, 0x70, s2
	;; [unrolled: 1-line block ×4, first 2 shown]
.LBB50_2:                               ; =>This Inner Loop Header: Depth=1
	s_waitcnt vmcnt(15)
	scratch_store_b128 off, v[60:63], off
	s_waitcnt vmcnt(9)
	scratch_store_b128 off, v[56:59], off offset:16
	s_waitcnt vmcnt(8)
	s_clause 0x5
	scratch_store_b128 off, v[52:55], off offset:32
	scratch_store_b128 off, v[48:51], off offset:48
	;; [unrolled: 1-line block ×6, first 2 shown]
	s_waitcnt vmcnt(7)
	scratch_store_b128 off, v[28:31], off offset:128
	scratch_load_b128 v[28:31], v66, off
	s_add_i32 s5, s5, -1
	s_delay_alu instid0(SALU_CYCLE_1)
	s_cmp_lg_u32 s5, 0
	s_waitcnt vmcnt(0)
	ds_swizzle_b32 v28, v28 offset:swizzle(SWAP,8)
	ds_swizzle_b32 v29, v29 offset:swizzle(SWAP,8)
	ds_swizzle_b32 v30, v30 offset:swizzle(SWAP,8)
	ds_swizzle_b32 v31, v31 offset:swizzle(SWAP,8)
	scratch_store_b128 off, v[24:27], off offset:144
	s_waitcnt lgkmcnt(0)
	scratch_store_b128 v66, v[28:31], off
	scratch_load_b128 v[24:27], v65, off
	s_waitcnt vmcnt(0)
	ds_swizzle_b32 v24, v24 offset:swizzle(SWAP,8)
	ds_swizzle_b32 v25, v25 offset:swizzle(SWAP,8)
	ds_swizzle_b32 v26, v26 offset:swizzle(SWAP,8)
	ds_swizzle_b32 v27, v27 offset:swizzle(SWAP,8)
	scratch_store_b128 off, v[20:23], off offset:160
	s_waitcnt lgkmcnt(0)
	scratch_store_b128 v65, v[24:27], off
	scratch_load_b128 v[20:23], v87, off
	s_waitcnt vmcnt(0)
	ds_swizzle_b32 v20, v20 offset:swizzle(SWAP,8)
	ds_swizzle_b32 v21, v21 offset:swizzle(SWAP,8)
	ds_swizzle_b32 v22, v22 offset:swizzle(SWAP,8)
	ds_swizzle_b32 v23, v23 offset:swizzle(SWAP,8)
	scratch_store_b128 off, v[16:19], off offset:176
	s_waitcnt lgkmcnt(0)
	scratch_store_b128 v87, v[20:23], off
	scratch_load_b128 v[16:19], v91, off
	s_waitcnt vmcnt(0)
	ds_swizzle_b32 v16, v16 offset:swizzle(SWAP,8)
	ds_swizzle_b32 v17, v17 offset:swizzle(SWAP,8)
	ds_swizzle_b32 v18, v18 offset:swizzle(SWAP,8)
	ds_swizzle_b32 v19, v19 offset:swizzle(SWAP,8)
	scratch_store_b128 off, v[12:15], off offset:192
	s_waitcnt lgkmcnt(0)
	scratch_store_b128 v91, v[16:19], off
	scratch_load_b128 v[12:15], v92, off
	s_waitcnt vmcnt(0)
	ds_swizzle_b32 v12, v12 offset:swizzle(SWAP,8)
	ds_swizzle_b32 v13, v13 offset:swizzle(SWAP,8)
	;; [unrolled: 1-line block ×4, first 2 shown]
	scratch_store_b128 off, v[8:11], off offset:208
	s_waitcnt lgkmcnt(0)
	scratch_store_b128 v92, v[12:15], off
	s_clause 0x1
	scratch_load_b128 v[8:11], v67, off
	scratch_load_b128 v[12:15], v70, off
	scratch_store_b128 off, v[4:7], off offset:224
	s_waitcnt vmcnt(1)
	ds_swizzle_b32 v4, v8 offset:swizzle(SWAP,8)
	ds_swizzle_b32 v5, v9 offset:swizzle(SWAP,8)
	;; [unrolled: 1-line block ×4, first 2 shown]
	s_waitcnt vmcnt(0)
	ds_swizzle_b32 v8, v12 offset:swizzle(SWAP,4)
	ds_swizzle_b32 v9, v13 offset:swizzle(SWAP,4)
	;; [unrolled: 1-line block ×4, first 2 shown]
	s_waitcnt lgkmcnt(4)
	scratch_store_b128 v67, v[4:7], off
	s_waitcnt lgkmcnt(0)
	scratch_store_b128 v70, v[8:11], off
	s_clause 0x1
	scratch_load_b128 v[4:7], v68, off
	scratch_load_b128 v[8:11], v88, off
	scratch_store_b128 off, v[0:3], off offset:240
	s_waitcnt vmcnt(1)
	ds_swizzle_b32 v0, v4 offset:swizzle(SWAP,8)
	ds_swizzle_b32 v1, v5 offset:swizzle(SWAP,8)
	ds_swizzle_b32 v2, v6 offset:swizzle(SWAP,8)
	ds_swizzle_b32 v3, v7 offset:swizzle(SWAP,8)
	s_waitcnt vmcnt(0)
	ds_swizzle_b32 v4, v8 offset:swizzle(SWAP,4)
	ds_swizzle_b32 v5, v9 offset:swizzle(SWAP,4)
	ds_swizzle_b32 v6, v10 offset:swizzle(SWAP,4)
	ds_swizzle_b32 v7, v11 offset:swizzle(SWAP,4)
	s_waitcnt lgkmcnt(4)
	scratch_store_b128 v68, v[0:3], off
	s_waitcnt lgkmcnt(0)
	scratch_store_b128 v88, v[4:7], off
	s_clause 0x1
	scratch_load_b128 v[0:3], v69, off
	scratch_load_b128 v[4:7], v93, off
	s_waitcnt vmcnt(1)
	ds_swizzle_b32 v0, v0 offset:swizzle(SWAP,8)
	ds_swizzle_b32 v1, v1 offset:swizzle(SWAP,8)
	ds_swizzle_b32 v2, v2 offset:swizzle(SWAP,8)
	ds_swizzle_b32 v3, v3 offset:swizzle(SWAP,8)
	s_waitcnt vmcnt(0)
	ds_swizzle_b32 v4, v4 offset:swizzle(SWAP,4)
	ds_swizzle_b32 v5, v5 offset:swizzle(SWAP,4)
	ds_swizzle_b32 v6, v6 offset:swizzle(SWAP,4)
	ds_swizzle_b32 v7, v7 offset:swizzle(SWAP,4)
	s_waitcnt lgkmcnt(4)
	scratch_store_b128 v69, v[0:3], off
	s_waitcnt lgkmcnt(0)
	scratch_store_b128 v93, v[4:7], off
	s_clause 0x1
	scratch_load_b128 v[0:3], v94, off
	scratch_load_b128 v[4:7], v71, off
	;; [unrolled: 17-line block ×4, first 2 shown]
	s_waitcnt vmcnt(1)
	ds_swizzle_b32 v0, v0 offset:swizzle(SWAP,4)
	ds_swizzle_b32 v1, v1 offset:swizzle(SWAP,4)
	;; [unrolled: 1-line block ×4, first 2 shown]
	s_waitcnt vmcnt(0)
	ds_swizzle_b32 v4, v4 offset:swizzle(SWAP,2)
	ds_swizzle_b32 v5, v5 offset:swizzle(SWAP,2)
	;; [unrolled: 1-line block ×4, first 2 shown]
	s_waitcnt lgkmcnt(4)
	scratch_store_b128 v73, v[0:3], off
	s_clause 0x1
	scratch_load_b128 v[0:3], v74, off
	scratch_load_b128 v[8:11], v95, off
	s_waitcnt vmcnt(1)
	ds_swizzle_b32 v0, v0 offset:swizzle(SWAP,4)
	ds_swizzle_b32 v1, v1 offset:swizzle(SWAP,4)
	ds_swizzle_b32 v2, v2 offset:swizzle(SWAP,4)
	ds_swizzle_b32 v3, v3 offset:swizzle(SWAP,4)
	s_waitcnt vmcnt(0)
	ds_swizzle_b32 v8, v8 offset:swizzle(SWAP,2)
	ds_swizzle_b32 v9, v9 offset:swizzle(SWAP,2)
	ds_swizzle_b32 v10, v10 offset:swizzle(SWAP,2)
	ds_swizzle_b32 v11, v11 offset:swizzle(SWAP,2)
	s_waitcnt lgkmcnt(4)
	scratch_store_b128 v74, v[0:3], off
	s_waitcnt lgkmcnt(0)
	scratch_store_b128 v95, v[8:11], off
	s_clause 0x1
	scratch_load_b128 v[0:3], v76, off
	scratch_load_b128 v[8:11], v77, off
	s_waitcnt vmcnt(1)
	ds_swizzle_b32 v0, v0 offset:swizzle(SWAP,2)
	ds_swizzle_b32 v1, v1 offset:swizzle(SWAP,2)
	ds_swizzle_b32 v2, v2 offset:swizzle(SWAP,2)
	ds_swizzle_b32 v3, v3 offset:swizzle(SWAP,2)
	s_waitcnt vmcnt(0)
	ds_swizzle_b32 v8, v8 offset:swizzle(SWAP,2)
	ds_swizzle_b32 v9, v9 offset:swizzle(SWAP,2)
	ds_swizzle_b32 v10, v10 offset:swizzle(SWAP,2)
	ds_swizzle_b32 v11, v11 offset:swizzle(SWAP,2)
	s_waitcnt lgkmcnt(4)
	scratch_store_b128 v76, v[0:3], off
	;; [unrolled: 17-line block ×3, first 2 shown]
	s_waitcnt lgkmcnt(0)
	scratch_store_b128 v79, v[8:11], off
	scratch_load_b128 v[0:3], v80, off
	scratch_store_b128 v89, v[4:7], off
	s_clause 0x5
	scratch_load_b128 v[4:7], v81, off
	scratch_load_b128 v[8:11], v90, off
	;; [unrolled: 1-line block ×6, first 2 shown]
	s_waitcnt vmcnt(5)
	ds_swizzle_b32 v4, v4 offset:swizzle(SWAP,1)
	ds_swizzle_b32 v0, v0 offset:swizzle(SWAP,2)
	ds_swizzle_b32 v1, v1 offset:swizzle(SWAP,2)
	ds_swizzle_b32 v2, v2 offset:swizzle(SWAP,2)
	ds_swizzle_b32 v3, v3 offset:swizzle(SWAP,2)
	s_waitcnt vmcnt(4)
	ds_swizzle_b32 v8, v8 offset:swizzle(SWAP,1)
	ds_swizzle_b32 v9, v9 offset:swizzle(SWAP,1)
	;; [unrolled: 1-line block ×7, first 2 shown]
	s_waitcnt vmcnt(3)
	ds_swizzle_b32 v12, v12 offset:swizzle(SWAP,1)
	ds_swizzle_b32 v13, v13 offset:swizzle(SWAP,1)
	;; [unrolled: 1-line block ×4, first 2 shown]
	s_waitcnt lgkmcnt(11)
	scratch_store_b128 v80, v[0:3], off
	s_clause 0x1
	scratch_load_b128 v[0:3], v85, off
	scratch_load_b128 v[28:31], v86, off
	s_waitcnt lgkmcnt(7)
	scratch_store_b128 v90, v[8:11], off
	s_waitcnt vmcnt(4)
	ds_swizzle_b32 v8, v16 offset:swizzle(SWAP,1)
	ds_swizzle_b32 v9, v17 offset:swizzle(SWAP,1)
	s_waitcnt lgkmcnt(6)
	scratch_store_b128 v81, v[4:7], off
	ds_swizzle_b32 v10, v18 offset:swizzle(SWAP,1)
	ds_swizzle_b32 v11, v19 offset:swizzle(SWAP,1)
	s_waitcnt vmcnt(3)
	ds_swizzle_b32 v16, v20 offset:swizzle(SWAP,1)
	ds_swizzle_b32 v17, v21 offset:swizzle(SWAP,1)
	;; [unrolled: 1-line block ×4, first 2 shown]
	s_waitcnt vmcnt(2)
	ds_swizzle_b32 v4, v24 offset:swizzle(SWAP,1)
	ds_swizzle_b32 v5, v25 offset:swizzle(SWAP,1)
	;; [unrolled: 1-line block ×4, first 2 shown]
	s_waitcnt lgkmcnt(12)
	scratch_store_b128 v96, v[12:15], off
	s_clause 0x3
	scratch_load_b128 v[60:63], off, off
	scratch_load_b128 v[48:51], off, off offset:48
	scratch_load_b128 v[44:47], off, off offset:64
	scratch_load_b128 v[40:43], off, off offset:80
	s_waitcnt lgkmcnt(8)
	scratch_store_b128 v82, v[8:11], off
	s_clause 0x1
	scratch_load_b128 v[36:39], off, off offset:96
	scratch_load_b128 v[32:35], off, off offset:112
	s_waitcnt lgkmcnt(4)
	scratch_store_b128 v83, v[16:19], off
	s_waitcnt vmcnt(7)
	ds_swizzle_b32 v0, v0 offset:swizzle(SWAP,1)
	ds_swizzle_b32 v1, v1 offset:swizzle(SWAP,1)
	;; [unrolled: 1-line block ×4, first 2 shown]
	s_waitcnt vmcnt(6)
	ds_swizzle_b32 v97, v28 offset:swizzle(SWAP,1)
	ds_swizzle_b32 v98, v29 offset:swizzle(SWAP,1)
	;; [unrolled: 1-line block ×4, first 2 shown]
	s_clause 0x3
	scratch_load_b128 v[56:59], off, off offset:16
	scratch_load_b128 v[52:55], off, off offset:32
	;; [unrolled: 1-line block ×4, first 2 shown]
	s_waitcnt lgkmcnt(8)
	scratch_store_b128 v84, v[4:7], off
	s_clause 0x1
	scratch_load_b128 v[20:23], off, off offset:160
	scratch_load_b128 v[16:19], off, off offset:176
	s_waitcnt lgkmcnt(4)
	scratch_store_b128 v85, v[0:3], off
	s_waitcnt lgkmcnt(0)
	scratch_store_b128 v86, v[97:100], off
	s_clause 0x3
	scratch_load_b128 v[12:15], off, off offset:192
	scratch_load_b128 v[8:11], off, off offset:208
	;; [unrolled: 1-line block ×4, first 2 shown]
	; wave barrier
	s_cbranch_scc1 .LBB50_2
	s_branch .LBB50_4
.LBB50_3:
	v_dual_mov_b32 v65, 0 :: v_dual_mov_b32 v2, 0
	v_dual_mov_b32 v3, 0 :: v_dual_mov_b32 v62, 0
	v_dual_mov_b32 v63, 0 :: v_dual_mov_b32 v60, v64
	s_delay_alu instid0(VALU_DEP_2)
	v_dual_mov_b32 v57, v65 :: v_dual_mov_b32 v58, v62
	v_dual_mov_b32 v53, v65 :: v_dual_mov_b32 v54, v62
	;; [unrolled: 1-line block ×14, first 2 shown]
	v_mov_b32_e32 v1, v65
	v_mov_b32_e32 v61, v65
	;; [unrolled: 1-line block ×16, first 2 shown]
.LBB50_4:
	s_load_b64 s[0:1], s[0:1], 0x0
	v_lshl_or_b32 v64, s15, 12, v64
	v_mov_b32_e32 v65, 0
	s_delay_alu instid0(VALU_DEP_1) | instskip(SKIP_1) | instid1(VALU_DEP_1)
	v_lshlrev_b64 v[64:65], 4, v[64:65]
	s_waitcnt lgkmcnt(0)
	v_add_co_u32 v64, vcc_lo, s0, v64
	s_delay_alu instid0(VALU_DEP_2)
	v_add_co_ci_u32_e32 v65, vcc_lo, s1, v65, vcc_lo
	s_waitcnt vmcnt(15)
	global_store_b128 v[64:65], v[60:63], off
	s_waitcnt vmcnt(9)
	global_store_b128 v[64:65], v[56:59], off offset:16
	s_waitcnt vmcnt(8)
	s_clause 0x5
	global_store_b128 v[64:65], v[52:55], off offset:32
	global_store_b128 v[64:65], v[48:51], off offset:48
	;; [unrolled: 1-line block ×6, first 2 shown]
	s_waitcnt vmcnt(7)
	global_store_b128 v[64:65], v[28:31], off offset:128
	s_waitcnt vmcnt(6)
	global_store_b128 v[64:65], v[24:27], off offset:144
	;; [unrolled: 2-line block ×8, first 2 shown]
	s_endpgm
	.section	.rodata,"a",@progbits
	.p2align	6, 0x0
	.amdhsa_kernel _Z20warp_exchange_kernelILj256ELj16ELj16EN6common25BlockedToStripedShuffleOpEnEvPT3_j
		.amdhsa_group_segment_fixed_size 0
		.amdhsa_private_segment_fixed_size 272
		.amdhsa_kernarg_size 12
		.amdhsa_user_sgpr_count 15
		.amdhsa_user_sgpr_dispatch_ptr 0
		.amdhsa_user_sgpr_queue_ptr 0
		.amdhsa_user_sgpr_kernarg_segment_ptr 1
		.amdhsa_user_sgpr_dispatch_id 0
		.amdhsa_user_sgpr_private_segment_size 0
		.amdhsa_wavefront_size32 1
		.amdhsa_uses_dynamic_stack 0
		.amdhsa_enable_private_segment 1
		.amdhsa_system_sgpr_workgroup_id_x 1
		.amdhsa_system_sgpr_workgroup_id_y 0
		.amdhsa_system_sgpr_workgroup_id_z 0
		.amdhsa_system_sgpr_workgroup_info 0
		.amdhsa_system_vgpr_workitem_id 0
		.amdhsa_next_free_vgpr 101
		.amdhsa_next_free_sgpr 16
		.amdhsa_reserve_vcc 1
		.amdhsa_float_round_mode_32 0
		.amdhsa_float_round_mode_16_64 0
		.amdhsa_float_denorm_mode_32 3
		.amdhsa_float_denorm_mode_16_64 3
		.amdhsa_dx10_clamp 1
		.amdhsa_ieee_mode 1
		.amdhsa_fp16_overflow 0
		.amdhsa_workgroup_processor_mode 1
		.amdhsa_memory_ordered 1
		.amdhsa_forward_progress 0
		.amdhsa_shared_vgpr_count 0
		.amdhsa_exception_fp_ieee_invalid_op 0
		.amdhsa_exception_fp_denorm_src 0
		.amdhsa_exception_fp_ieee_div_zero 0
		.amdhsa_exception_fp_ieee_overflow 0
		.amdhsa_exception_fp_ieee_underflow 0
		.amdhsa_exception_fp_ieee_inexact 0
		.amdhsa_exception_int_div_zero 0
	.end_amdhsa_kernel
	.section	.text._Z20warp_exchange_kernelILj256ELj16ELj16EN6common25BlockedToStripedShuffleOpEnEvPT3_j,"axG",@progbits,_Z20warp_exchange_kernelILj256ELj16ELj16EN6common25BlockedToStripedShuffleOpEnEvPT3_j,comdat
.Lfunc_end50:
	.size	_Z20warp_exchange_kernelILj256ELj16ELj16EN6common25BlockedToStripedShuffleOpEnEvPT3_j, .Lfunc_end50-_Z20warp_exchange_kernelILj256ELj16ELj16EN6common25BlockedToStripedShuffleOpEnEvPT3_j
                                        ; -- End function
	.section	.AMDGPU.csdata,"",@progbits
; Kernel info:
; codeLenInByte = 3372
; NumSgprs: 18
; NumVgprs: 101
; ScratchSize: 272
; MemoryBound: 0
; FloatMode: 240
; IeeeMode: 1
; LDSByteSize: 0 bytes/workgroup (compile time only)
; SGPRBlocks: 2
; VGPRBlocks: 12
; NumSGPRsForWavesPerEU: 18
; NumVGPRsForWavesPerEU: 101
; Occupancy: 12
; WaveLimiterHint : 0
; COMPUTE_PGM_RSRC2:SCRATCH_EN: 1
; COMPUTE_PGM_RSRC2:USER_SGPR: 15
; COMPUTE_PGM_RSRC2:TRAP_HANDLER: 0
; COMPUTE_PGM_RSRC2:TGID_X_EN: 1
; COMPUTE_PGM_RSRC2:TGID_Y_EN: 0
; COMPUTE_PGM_RSRC2:TGID_Z_EN: 0
; COMPUTE_PGM_RSRC2:TIDIG_COMP_CNT: 0
	.section	.text._Z20warp_exchange_kernelILj256ELj16ELj32EN6common25BlockedToStripedShuffleOpEnEvPT3_j,"axG",@progbits,_Z20warp_exchange_kernelILj256ELj16ELj32EN6common25BlockedToStripedShuffleOpEnEvPT3_j,comdat
	.protected	_Z20warp_exchange_kernelILj256ELj16ELj32EN6common25BlockedToStripedShuffleOpEnEvPT3_j ; -- Begin function _Z20warp_exchange_kernelILj256ELj16ELj32EN6common25BlockedToStripedShuffleOpEnEvPT3_j
	.globl	_Z20warp_exchange_kernelILj256ELj16ELj32EN6common25BlockedToStripedShuffleOpEnEvPT3_j
	.p2align	8
	.type	_Z20warp_exchange_kernelILj256ELj16ELj32EN6common25BlockedToStripedShuffleOpEnEvPT3_j,@function
_Z20warp_exchange_kernelILj256ELj16ELj32EN6common25BlockedToStripedShuffleOpEnEvPT3_j: ; @_Z20warp_exchange_kernelILj256ELj16ELj32EN6common25BlockedToStripedShuffleOpEnEvPT3_j
; %bb.0:
	s_load_b32 s2, s[0:1], 0x8
	v_dual_mov_b32 v65, 0 :: v_dual_lshlrev_b32 v64, 4, v0
	s_delay_alu instid0(VALU_DEP_1)
	v_or_b32_e32 v60, 1, v64
	v_or_b32_e32 v28, 2, v64
	;; [unrolled: 1-line block ×15, first 2 shown]
	s_waitcnt lgkmcnt(0)
	s_cmp_eq_u32 s2, 0
	s_cbranch_scc1 .LBB51_4
; %bb.1:
	v_mbcnt_lo_u32_b32 v2, -1, 0
	v_mov_b32_e32 v58, 0
	v_dual_mov_b32 v59, 0 :: v_dual_mov_b32 v22, 0
	v_mov_b32_e32 v23, 0
	s_delay_alu instid0(VALU_DEP_4)
	v_and_b32_e32 v3, 3, v2
	v_add_nc_u32_e32 v5, -1, v2
	v_mov_b32_e32 v41, v65
	v_mov_b32_e32 v33, v65
	;; [unrolled: 1-line block ×3, first 2 shown]
	v_xor_b32_e32 v6, 2, v3
	v_dual_mov_b32 v42, v22 :: v_dual_mov_b32 v21, v65
	v_dual_mov_b32 v35, v23 :: v_dual_and_b32 v10, 3, v5
	s_delay_alu instid0(VALU_DEP_3) | instskip(SKIP_2) | instid1(VALU_DEP_4)
	v_add_nc_u32_e32 v7, 3, v6
	v_mov_b32_e32 v13, v65
	v_lshl_add_u32 v67, v6, 4, 0
	v_lshl_add_u32 v66, v10, 4, 0
	v_add_nc_u32_e32 v10, 20, v2
	v_and_b32_e32 v14, 3, v7
	v_dual_mov_b32 v34, v22 :: v_dual_lshlrev_b32 v7, 4, v7
	v_mov_b32_e32 v51, v23
	v_mov_b32_e32 v45, v65
	s_delay_alu instid0(VALU_DEP_4) | instskip(NEXT) | instid1(VALU_DEP_4)
	v_lshl_add_u32 v68, v14, 4, 0
	v_or_b32_e32 v6, 0xc0, v7
	v_mov_b32_e32 v14, v22
	v_lshl_add_u32 v5, v3, 4, 0
	v_or_b32_e32 v3, 64, v7
	v_dual_mov_b32 v50, v22 :: v_dual_add_nc_u32 v7, 24, v2
	v_dual_mov_b32 v9, v65 :: v_dual_add_nc_u32 v70, 0, v6
	s_delay_alu instid0(VALU_DEP_3) | instskip(NEXT) | instid1(VALU_DEP_3)
	v_dual_mov_b32 v18, v22 :: v_dual_add_nc_u32 v69, 0, v3
	v_and_b32_e32 v3, 31, v7
	v_and_b32_e32 v6, 31, v10
	v_add_nc_u32_e32 v7, 12, v2
	v_dual_mov_b32 v49, v65 :: v_dual_add_nc_u32 v10, 8, v2
	s_delay_alu instid0(VALU_DEP_4)
	v_dual_mov_b32 v37, v65 :: v_dual_lshlrev_b32 v72, 2, v3
	v_mov_b32_e32 v17, v65
	v_add_nc_u32_e32 v11, 28, v2
	v_dual_mov_b32 v54, v65 :: v_dual_lshlrev_b32 v73, 2, v6
	v_dual_mov_b32 v30, v65 :: v_dual_lshlrev_b32 v3, 2, v2
	v_and_b32_e32 v6, 31, v7
	v_dual_mov_b32 v62, v65 :: v_dual_and_b32 v7, 31, v10
	v_add_nc_u32_e32 v10, 4, v2
	v_lshrrev_b32_e32 v2, 2, v2
	s_delay_alu instid0(VALU_DEP_3)
	v_dual_mov_b32 v1, v65 :: v_dual_lshlrev_b32 v76, 2, v7
	v_xor_b32_e32 v74, 64, v3
	v_dual_mov_b32 v56, v64 :: v_dual_lshlrev_b32 v75, 2, v6
	v_and_b32_e32 v3, 31, v10
	v_dual_mov_b32 v15, v23 :: v_dual_add_nc_u32 v6, -1, v2
	v_add_nc_u32_e32 v7, 6, v2
	v_xor_b32_e32 v10, 4, v2
	s_delay_alu instid0(VALU_DEP_4) | instskip(NEXT) | instid1(VALU_DEP_4)
	v_lshlrev_b32_e32 v77, 2, v3
	v_and_b32_e32 v3, 7, v6
	s_delay_alu instid0(VALU_DEP_4) | instskip(NEXT) | instid1(VALU_DEP_4)
	v_dual_mov_b32 v47, v23 :: v_dual_and_b32 v6, 7, v7
	v_dual_mov_b32 v46, v22 :: v_dual_add_nc_u32 v7, 7, v10
	v_and_b32_e32 v11, 31, v11
	s_delay_alu instid0(VALU_DEP_4) | instskip(NEXT) | instid1(VALU_DEP_4)
	v_lshl_add_u32 v79, v3, 4, 0x100
	v_lshl_add_u32 v80, v6, 4, 0x100
	v_add_nc_u32_e32 v6, 5, v10
	v_add_nc_u32_e32 v3, 6, v10
	v_lshl_add_u32 v82, v10, 4, 0x100
	v_mov_b32_e32 v39, v23
	v_lshl_add_u32 v78, v2, 4, 0x100
	v_and_b32_e32 v10, 7, v6
	v_dual_mov_b32 v38, v22 :: v_dual_lshlrev_b32 v71, 2, v11
	v_dual_mov_b32 v26, v65 :: v_dual_add_nc_u32 v11, 5, v2
	v_dual_mov_b32 v19, v23 :: v_dual_and_b32 v2, 7, v7
	v_lshl_or_b32 v6, v6, 4, 0x80
	v_lshl_add_u32 v87, v10, 4, 0x100
	s_delay_alu instid0(VALU_DEP_4) | instskip(NEXT) | instid1(VALU_DEP_4)
	v_and_b32_e32 v11, 7, v11
	v_lshl_add_u32 v83, v2, 4, 0x100
	v_lshl_or_b32 v2, v7, 4, 0x80
	v_and_b32_e32 v7, 7, v3
	v_lshl_or_b32 v3, v3, 4, 0x80
	v_lshl_add_u32 v81, v11, 4, 0x100
	v_mov_b32_e32 v10, v22
	v_add_nc_u32_e32 v84, 0x100, v2
	v_lshl_add_u32 v85, v7, 4, 0x100
	v_dual_mov_b32 v7, v65 :: v_dual_add_nc_u32 v86, 0x100, v3
	v_dual_mov_b32 v25, v65 :: v_dual_mov_b32 v2, v22
	v_dual_mov_b32 v27, v65 :: v_dual_add_nc_u32 v88, 0x100, v6
	v_dual_mov_b32 v11, v23 :: v_dual_mov_b32 v6, v65
	v_mov_b32_e32 v3, v23
	v_mov_b32_e32 v53, v65
	;; [unrolled: 1-line block ×8, first 2 shown]
.LBB51_2:                               ; =>This Inner Loop Header: Depth=1
	s_waitcnt lgkmcnt(50)
	scratch_store_b128 off, v[36:39], off offset:128
	s_waitcnt lgkmcnt(8)
	scratch_store_b128 off, v[44:47], off offset:176
	;; [unrolled: 2-line block ×3, first 2 shown]
	scratch_load_b64 v[22:23], off, off offset:184
	s_waitcnt vmcnt(1)
	v_mov_b32_dpp v36, v60 quad_perm:[3,0,1,2] row_mask:0xf bank_mask:0xf
	v_mov_b32_dpp v37, v61 quad_perm:[3,0,1,2] row_mask:0xf bank_mask:0xf
	scratch_load_b64 v[60:61], off, off offset:248
	v_mov_b32_dpp v48, v48 quad_perm:[3,0,1,2] row_mask:0xf bank_mask:0xf
	v_mov_b32_dpp v49, v49 quad_perm:[3,0,1,2] row_mask:0xf bank_mask:0xf
	;; [unrolled: 1-line block ×20, first 2 shown]
	s_clause 0x1
	scratch_store_b128 off, v[48:51], off offset:144
	scratch_store_b128 off, v[32:35], off offset:160
	v_mov_b32_dpp v28, v28 quad_perm:[2,3,0,1] row_mask:0xf bank_mask:0xf
	v_mov_b32_dpp v29, v29 quad_perm:[2,3,0,1] row_mask:0xf bank_mask:0xf
	;; [unrolled: 1-line block ×18, first 2 shown]
	s_add_i32 s2, s2, -1
	s_delay_alu instid0(SALU_CYCLE_1)
	s_cmp_eq_u32 s2, 0
	s_waitcnt vmcnt(1)
	v_mov_b32_dpp v46, v22 quad_perm:[1,2,3,0] row_mask:0xf bank_mask:0xf
	v_mov_b32_dpp v47, v23 quad_perm:[1,2,3,0] row_mask:0xf bank_mask:0xf
	s_clause 0x1
	scratch_store_b128 off, v[8:11], off offset:192
	scratch_store_b128 off, v[44:47], off offset:176
	s_waitcnt vmcnt(0)
	v_mov_b32_dpp v22, v60 quad_perm:[1,2,3,0] row_mask:0xf bank_mask:0xf
	v_mov_b32_dpp v23, v61 quad_perm:[1,2,3,0] row_mask:0xf bank_mask:0xf
	scratch_load_b128 v[8:11], v66, off offset:128
	s_clause 0x2
	scratch_store_b128 off, v[40:43], off offset:208
	scratch_store_b128 off, v[12:15], off offset:224
	;; [unrolled: 1-line block ×3, first 2 shown]
	scratch_load_b128 v[12:15], v66, off offset:192
	s_clause 0x3
	scratch_store_b128 off, v[56:59], off
	scratch_store_b128 off, v[36:39], off offset:16
	scratch_store_b128 off, v[28:31], off offset:32
	;; [unrolled: 1-line block ×3, first 2 shown]
	v_mov_b32_dpp v28, v4 quad_perm:[2,3,0,1] row_mask:0xf bank_mask:0xf
	v_mov_b32_dpp v29, v65 quad_perm:[2,3,0,1] row_mask:0xf bank_mask:0xf
	;; [unrolled: 1-line block ×4, first 2 shown]
	scratch_load_b128 v[20:23], v67, off
	s_clause 0x3
	scratch_store_b128 off, v[0:3], off offset:64
	scratch_store_b128 off, v[24:27], off offset:80
	;; [unrolled: 1-line block ×4, first 2 shown]
	scratch_load_b128 v[0:3], v67, off offset:64
	s_waitcnt vmcnt(3)
	v_mov_b32_dpp v6, v8 quad_perm:[1,2,3,0] row_mask:0xf bank_mask:0xf
	v_mov_b32_dpp v7, v9 quad_perm:[1,2,3,0] row_mask:0xf bank_mask:0xf
	;; [unrolled: 1-line block ×3, first 2 shown]
	s_waitcnt vmcnt(2)
	scratch_store_b128 off, v[12:15], off offset:368
	v_mov_b32_dpp v9, v11 quad_perm:[1,2,3,0] row_mask:0xf bank_mask:0xf
	scratch_load_b128 v[10:13], off, off offset:368
	s_waitcnt vmcnt(2)
	scratch_store_b128 off, v[20:23], off offset:384
	scratch_load_b128 v[14:17], off, off offset:384
	s_waitcnt vmcnt(1)
	v_mov_b32_dpp v10, v10 quad_perm:[1,2,3,0] row_mask:0xf bank_mask:0xf
	v_mov_b32_dpp v11, v11 quad_perm:[1,2,3,0] row_mask:0xf bank_mask:0xf
	;; [unrolled: 1-line block ×4, first 2 shown]
	scratch_store_b128 off, v[0:3], off offset:400
	scratch_load_b128 v[0:3], v67, off offset:128
	scratch_load_b128 v[18:21], off, off offset:400
	s_waitcnt vmcnt(2)
	v_mov_b32_dpp v14, v14 quad_perm:[2,3,0,1] row_mask:0xf bank_mask:0xf
	scratch_store_b128 off, v[10:13], off offset:368
	scratch_load_b128 v[10:13], off, off offset:368
	s_clause 0x9
	scratch_load_b128 v[22:25], v5, off offset:64
	scratch_load_b128 v[26:29], v66, off
	scratch_load_b128 v[30:33], v66, off offset:64
	scratch_load_b128 v[34:37], v68, off
	scratch_load_b128 v[38:41], v5, off offset:128
	scratch_load_b128 v[42:45], v68, off offset:128
	scratch_load_b128 v[46:49], v70, off
	scratch_load_b128 v[50:53], v69, off
	scratch_load_b128 v[54:57], v5, off offset:192
	scratch_load_b128 v[58:61], v67, off offset:192
	v_mov_b32_dpp v15, v15 quad_perm:[2,3,0,1] row_mask:0xf bank_mask:0xf
	v_mov_b32_dpp v16, v16 quad_perm:[2,3,0,1] row_mask:0xf bank_mask:0xf
	;; [unrolled: 1-line block ×3, first 2 shown]
	s_waitcnt vmcnt(10)
	ds_bpermute_b32 v10, v77, v10
	s_waitcnt vmcnt(9)
	scratch_store_b128 off, v[22:25], off offset:272
	s_waitcnt vmcnt(8)
	v_mov_b32_dpp v22, v26 quad_perm:[1,2,3,0] row_mask:0xf bank_mask:0xf
	v_mov_b32_dpp v23, v27 quad_perm:[1,2,3,0] row_mask:0xf bank_mask:0xf
	;; [unrolled: 1-line block ×4, first 2 shown]
	scratch_store_b128 off, v[0:3], off offset:416
	v_mov_b32_dpp v0, v18 quad_perm:[2,3,0,1] row_mask:0xf bank_mask:0xf
	v_mov_b32_dpp v1, v19 quad_perm:[2,3,0,1] row_mask:0xf bank_mask:0xf
	;; [unrolled: 1-line block ×4, first 2 shown]
	scratch_load_b128 v[18:21], off, off offset:416
	s_waitcnt vmcnt(8)
	v_mov_b32_dpp v26, v30 quad_perm:[1,2,3,0] row_mask:0xf bank_mask:0xf
	v_mov_b32_dpp v27, v31 quad_perm:[1,2,3,0] row_mask:0xf bank_mask:0xf
	;; [unrolled: 1-line block ×3, first 2 shown]
	scratch_store_b128 off, v[0:3], off offset:400
	v_mov_b32_dpp v29, v33 quad_perm:[1,2,3,0] row_mask:0xf bank_mask:0xf
	s_clause 0x1
	scratch_load_b128 v[0:3], off, off offset:400
	scratch_load_b128 v[89:92], off, off offset:272
	s_clause 0x1
	scratch_store_b128 off, v[22:25], off offset:320
	scratch_store_b128 off, v[26:29], off offset:336
	scratch_load_b128 v[22:25], off, off offset:336
	s_waitcnt vmcnt(9)
	scratch_store_b128 off, v[38:41], off offset:288
	s_waitcnt vmcnt(8)
	scratch_store_b128 off, v[42:45], off offset:480
	;; [unrolled: 2-line block ×3, first 2 shown]
	s_clause 0x1
	scratch_load_b32 v4, off, off offset:508
	scratch_load_b128 v[26:29], off, off offset:288
	s_waitcnt vmcnt(8)
	scratch_store_b128 off, v[50:53], off offset:464
	s_waitcnt vmcnt(7)
	scratch_store_b128 off, v[54:57], off offset:304
	;; [unrolled: 2-line block ×3, first 2 shown]
	v_mov_b32_dpp v30, v34 quad_perm:[3,0,1,2] row_mask:0xf bank_mask:0xf
	v_mov_b32_dpp v31, v35 quad_perm:[3,0,1,2] row_mask:0xf bank_mask:0xf
	;; [unrolled: 1-line block ×4, first 2 shown]
	scratch_load_b128 v[34:37], off, off offset:304
	v_mov_b32_dpp v38, v50 quad_perm:[3,0,1,2] row_mask:0xf bank_mask:0xf
	v_mov_b32_dpp v39, v51 quad_perm:[3,0,1,2] row_mask:0xf bank_mask:0xf
	;; [unrolled: 1-line block ×3, first 2 shown]
	s_clause 0x3
	scratch_load_b128 v[49:52], off, off offset:320
	scratch_load_b32 v61, off, off offset:476
	scratch_load_b32 v62, off, off offset:492
	scratch_load_b128 v[53:56], off, off offset:432
	scratch_store_b128 off, v[30:33], off offset:448
	v_mov_b32_dpp v30, v42 quad_perm:[3,0,1,2] row_mask:0xf bank_mask:0xf
	v_mov_b32_dpp v31, v43 quad_perm:[3,0,1,2] row_mask:0xf bank_mask:0xf
	;; [unrolled: 1-line block ×6, first 2 shown]
	scratch_load_b128 v[57:60], v5, off
	ds_bpermute_b32 v11, v77, v11
	ds_bpermute_b32 v12, v77, v12
	ds_bpermute_b32 v13, v77, v13
	scratch_store_b128 off, v[6:9], off offset:352
	scratch_load_b128 v[6:9], off, off offset:352
	s_waitcnt vmcnt(12)
	v_mov_b32_dpp v18, v18 quad_perm:[2,3,0,1] row_mask:0xf bank_mask:0xf
	v_mov_b32_dpp v19, v19 quad_perm:[2,3,0,1] row_mask:0xf bank_mask:0xf
	;; [unrolled: 1-line block ×4, first 2 shown]
	s_waitcnt vmcnt(11)
	ds_bpermute_b32 v0, v71, v0
	s_waitcnt vmcnt(10)
	ds_bpermute_b32 v45, v71, v89
	scratch_store_b128 off, v[18:21], off offset:416
	scratch_load_b128 v[18:21], off, off offset:416
	ds_bpermute_b32 v46, v71, v90
	s_waitcnt vmcnt(9)
	v_mov_b32_dpp v44, v4 quad_perm:[3,0,1,2] row_mask:0xf bank_mask:0xf
	ds_bpermute_b32 v47, v71, v91
	ds_bpermute_b32 v48, v71, v92
	s_waitcnt vmcnt(8)
	ds_bpermute_b32 v26, v72, v26
	ds_bpermute_b32 v27, v72, v27
	scratch_store_b128 off, v[41:44], off offset:496
	scratch_load_b128 v[89:92], off, off offset:496
	ds_bpermute_b32 v28, v72, v28
	ds_bpermute_b32 v29, v72, v29
	s_waitcnt vmcnt(8)
	ds_bpermute_b32 v34, v73, v34
	ds_bpermute_b32 v35, v73, v35
	;; [unrolled: 1-line block ×3, first 2 shown]
	s_waitcnt vmcnt(6)
	v_mov_b32_dpp v41, v61 quad_perm:[3,0,1,2] row_mask:0xf bank_mask:0xf
	s_waitcnt vmcnt(5)
	v_mov_b32_dpp v33, v62 quad_perm:[3,0,1,2] row_mask:0xf bank_mask:0xf
	;; [unrolled: 2-line block ×3, first 2 shown]
	v_mov_b32_dpp v54, v54 quad_perm:[2,3,0,1] row_mask:0xf bank_mask:0xf
	v_mov_b32_dpp v55, v55 quad_perm:[2,3,0,1] row_mask:0xf bank_mask:0xf
	;; [unrolled: 1-line block ×3, first 2 shown]
	s_clause 0x1
	scratch_store_b128 off, v[38:41], off offset:464
	scratch_store_b128 off, v[30:33], off offset:480
	s_clause 0x2
	scratch_load_b128 v[30:33], off, off offset:464
	scratch_load_b128 v[38:41], off, off offset:480
	;; [unrolled: 1-line block ×3, first 2 shown]
	ds_bpermute_b32 v37, v73, v37
	scratch_store_b128 off, v[53:56], off offset:432
	scratch_load_b128 v[53:56], off, off offset:432
	ds_bpermute_b32 v49, v74, v49
	ds_bpermute_b32 v50, v74, v50
	;; [unrolled: 1-line block ×11, first 2 shown]
	s_waitcnt vmcnt(6)
	ds_bpermute_b32 v6, v76, v6
	ds_bpermute_b32 v7, v76, v7
	;; [unrolled: 1-line block ×4, first 2 shown]
	scratch_store_b128 off, v[57:60], off offset:256
	s_waitcnt lgkmcnt(23)
	scratch_store_b128 off, v[45:48], off offset:272
	s_waitcnt lgkmcnt(19)
	;; [unrolled: 2-line block ×6, first 2 shown]
	s_clause 0x1
	scratch_store_b128 off, v[6:9], off offset:352
	scratch_store_b128 off, v[10:13], off offset:368
	s_waitcnt vmcnt(5)
	ds_bpermute_b32 v18, v72, v18
	ds_bpermute_b32 v19, v72, v19
	ds_bpermute_b32 v20, v72, v20
	ds_bpermute_b32 v21, v72, v21
	s_waitcnt vmcnt(4)
	ds_bpermute_b32 v6, v77, v89
	ds_bpermute_b32 v7, v77, v90
	ds_bpermute_b32 v8, v77, v91
	ds_bpermute_b32 v9, v77, v92
	;; [unrolled: 5-line block ×5, first 2 shown]
	ds_bpermute_b32 v40, v74, v93
	ds_bpermute_b32 v41, v74, v94
	;; [unrolled: 1-line block ×4, first 2 shown]
	s_clause 0x4
	scratch_load_b128 v[10:13], v79, off
	scratch_load_b128 v[32:35], v80, off
	;; [unrolled: 1-line block ×5, first 2 shown]
	scratch_store_b128 off, v[14:17], off offset:384
	s_waitcnt lgkmcnt(16)
	scratch_store_b128 off, v[6:9], off offset:496
	s_clause 0x1
	scratch_load_b128 v[14:17], v85, off
	scratch_load_b128 v[56:59], v87, off
	s_waitcnt lgkmcnt(12)
	scratch_store_b128 off, v[22:25], off offset:464
	s_waitcnt lgkmcnt(8)
	s_clause 0x2
	scratch_store_b128 off, v[26:29], off offset:480
	scratch_store_b128 off, v[0:3], off offset:400
	;; [unrolled: 1-line block ×3, first 2 shown]
	s_waitcnt lgkmcnt(4)
	scratch_store_b128 off, v[36:39], off offset:432
	s_waitcnt lgkmcnt(0)
	scratch_store_b128 off, v[40:43], off offset:448
	s_clause 0x6
	scratch_load_b128 v[18:21], v79, off offset:128
	scratch_load_b128 v[24:27], v80, off offset:128
	;; [unrolled: 1-line block ×4, first 2 shown]
	scratch_load_b128 v[89:92], v84, off
	scratch_load_b128 v[93:96], v86, off
	;; [unrolled: 1-line block ×3, first 2 shown]
	s_waitcnt vmcnt(13)
	ds_bpermute_b32 v30, v77, v12
	ds_bpermute_b32 v31, v77, v13
	s_waitcnt vmcnt(10)
	ds_bpermute_b32 v36, v74, v48
	ds_bpermute_b32 v37, v74, v49
	;; [unrolled: 1-line block ×4, first 2 shown]
	s_waitcnt vmcnt(8)
	ds_bpermute_b32 v8, v72, v14
	ds_bpermute_b32 v9, v72, v15
	s_waitcnt vmcnt(7)
	ds_bpermute_b32 v12, v71, v56
	ds_bpermute_b32 v13, v71, v57
	;; [unrolled: 1-line block ×5, first 2 shown]
	s_waitcnt vmcnt(3)
	ds_bpermute_b32 v48, v74, v60
	ds_bpermute_b32 v49, v74, v61
	;; [unrolled: 1-line block ×4, first 2 shown]
	s_clause 0x1
	scratch_load_b128 v[56:59], v78, off
	scratch_load_b128 v[60:63], v78, off offset:128
	ds_bpermute_b32 v29, v77, v11
	ds_bpermute_b32 v0, v76, v32
	;; [unrolled: 1-line block ×27, first 2 shown]
	s_waitcnt vmcnt(4)
	ds_bpermute_b32 v44, v73, v89
	ds_bpermute_b32 v45, v73, v90
	ds_bpermute_b32 v46, v73, v91
	ds_bpermute_b32 v47, v73, v92
	s_waitcnt vmcnt(3)
	ds_bpermute_b32 v40, v72, v93
	ds_bpermute_b32 v41, v72, v94
	ds_bpermute_b32 v42, v72, v95
	ds_bpermute_b32 v43, v72, v96
	;; [unrolled: 5-line block ×3, first 2 shown]
	; wave barrier
	s_cbranch_scc0 .LBB51_2
; %bb.3:
	s_waitcnt lgkmcnt(32)
	v_mov_b32_e32 v5, v65
	s_branch .LBB51_5
.LBB51_4:
	v_mov_b32_e32 v22, 0
	v_dual_mov_b32 v23, 0 :: v_dual_mov_b32 v58, 0
	v_mov_b32_e32 v59, 0
	v_dual_mov_b32 v61, v65 :: v_dual_mov_b32 v56, v64
	s_delay_alu instid0(VALU_DEP_3)
	v_dual_mov_b32 v53, v65 :: v_dual_mov_b32 v30, v58
	v_dual_mov_b32 v1, v65 :: v_dual_mov_b32 v54, v58
	;; [unrolled: 1-line block ×13, first 2 shown]
	v_mov_b32_e32 v63, v59
	v_dual_mov_b32 v29, v65 :: v_dual_mov_b32 v62, v58
	v_mov_b32_e32 v57, v65
	v_mov_b32_e32 v31, v59
	;; [unrolled: 1-line block ×14, first 2 shown]
.LBB51_5:
	s_load_b64 s[0:1], s[0:1], 0x0
	v_lshl_or_b32 v64, s15, 12, v64
	v_mov_b32_e32 v65, 0
	s_delay_alu instid0(VALU_DEP_1) | instskip(SKIP_1) | instid1(VALU_DEP_1)
	v_lshlrev_b64 v[64:65], 4, v[64:65]
	s_waitcnt lgkmcnt(0)
	v_add_co_u32 v64, vcc_lo, s0, v64
	s_delay_alu instid0(VALU_DEP_2)
	v_add_co_ci_u32_e32 v65, vcc_lo, s1, v65, vcc_lo
	s_waitcnt vmcnt(1)
	global_store_b128 v[64:65], v[56:59], off
	s_waitcnt vmcnt(0)
	s_clause 0xe
	global_store_b128 v[64:65], v[60:63], off offset:16
	global_store_b128 v[64:65], v[28:31], off offset:32
	;; [unrolled: 1-line block ×15, first 2 shown]
	s_endpgm
	.section	.rodata,"a",@progbits
	.p2align	6, 0x0
	.amdhsa_kernel _Z20warp_exchange_kernelILj256ELj16ELj32EN6common25BlockedToStripedShuffleOpEnEvPT3_j
		.amdhsa_group_segment_fixed_size 0
		.amdhsa_private_segment_fixed_size 528
		.amdhsa_kernarg_size 12
		.amdhsa_user_sgpr_count 15
		.amdhsa_user_sgpr_dispatch_ptr 0
		.amdhsa_user_sgpr_queue_ptr 0
		.amdhsa_user_sgpr_kernarg_segment_ptr 1
		.amdhsa_user_sgpr_dispatch_id 0
		.amdhsa_user_sgpr_private_segment_size 0
		.amdhsa_wavefront_size32 1
		.amdhsa_uses_dynamic_stack 0
		.amdhsa_enable_private_segment 1
		.amdhsa_system_sgpr_workgroup_id_x 1
		.amdhsa_system_sgpr_workgroup_id_y 0
		.amdhsa_system_sgpr_workgroup_id_z 0
		.amdhsa_system_sgpr_workgroup_info 0
		.amdhsa_system_vgpr_workitem_id 0
		.amdhsa_next_free_vgpr 101
		.amdhsa_next_free_sgpr 16
		.amdhsa_reserve_vcc 1
		.amdhsa_float_round_mode_32 0
		.amdhsa_float_round_mode_16_64 0
		.amdhsa_float_denorm_mode_32 3
		.amdhsa_float_denorm_mode_16_64 3
		.amdhsa_dx10_clamp 1
		.amdhsa_ieee_mode 1
		.amdhsa_fp16_overflow 0
		.amdhsa_workgroup_processor_mode 1
		.amdhsa_memory_ordered 1
		.amdhsa_forward_progress 0
		.amdhsa_shared_vgpr_count 0
		.amdhsa_exception_fp_ieee_invalid_op 0
		.amdhsa_exception_fp_denorm_src 0
		.amdhsa_exception_fp_ieee_div_zero 0
		.amdhsa_exception_fp_ieee_overflow 0
		.amdhsa_exception_fp_ieee_underflow 0
		.amdhsa_exception_fp_ieee_inexact 0
		.amdhsa_exception_int_div_zero 0
	.end_amdhsa_kernel
	.section	.text._Z20warp_exchange_kernelILj256ELj16ELj32EN6common25BlockedToStripedShuffleOpEnEvPT3_j,"axG",@progbits,_Z20warp_exchange_kernelILj256ELj16ELj32EN6common25BlockedToStripedShuffleOpEnEvPT3_j,comdat
.Lfunc_end51:
	.size	_Z20warp_exchange_kernelILj256ELj16ELj32EN6common25BlockedToStripedShuffleOpEnEvPT3_j, .Lfunc_end51-_Z20warp_exchange_kernelILj256ELj16ELj32EN6common25BlockedToStripedShuffleOpEnEvPT3_j
                                        ; -- End function
	.section	.AMDGPU.csdata,"",@progbits
; Kernel info:
; codeLenInByte = 3980
; NumSgprs: 18
; NumVgprs: 101
; ScratchSize: 528
; MemoryBound: 0
; FloatMode: 240
; IeeeMode: 1
; LDSByteSize: 0 bytes/workgroup (compile time only)
; SGPRBlocks: 2
; VGPRBlocks: 12
; NumSGPRsForWavesPerEU: 18
; NumVGPRsForWavesPerEU: 101
; Occupancy: 12
; WaveLimiterHint : 1
; COMPUTE_PGM_RSRC2:SCRATCH_EN: 1
; COMPUTE_PGM_RSRC2:USER_SGPR: 15
; COMPUTE_PGM_RSRC2:TRAP_HANDLER: 0
; COMPUTE_PGM_RSRC2:TGID_X_EN: 1
; COMPUTE_PGM_RSRC2:TGID_Y_EN: 0
; COMPUTE_PGM_RSRC2:TGID_Z_EN: 0
; COMPUTE_PGM_RSRC2:TIDIG_COMP_CNT: 0
	.section	.text._Z20warp_exchange_kernelILj256ELj1ELj16EN6common25StripedToBlockedShuffleOpEnEvPT3_j,"axG",@progbits,_Z20warp_exchange_kernelILj256ELj1ELj16EN6common25StripedToBlockedShuffleOpEnEvPT3_j,comdat
	.protected	_Z20warp_exchange_kernelILj256ELj1ELj16EN6common25StripedToBlockedShuffleOpEnEvPT3_j ; -- Begin function _Z20warp_exchange_kernelILj256ELj1ELj16EN6common25StripedToBlockedShuffleOpEnEvPT3_j
	.globl	_Z20warp_exchange_kernelILj256ELj1ELj16EN6common25StripedToBlockedShuffleOpEnEvPT3_j
	.p2align	8
	.type	_Z20warp_exchange_kernelILj256ELj1ELj16EN6common25StripedToBlockedShuffleOpEnEvPT3_j,@function
_Z20warp_exchange_kernelILj256ELj1ELj16EN6common25StripedToBlockedShuffleOpEnEvPT3_j: ; @_Z20warp_exchange_kernelILj256ELj1ELj16EN6common25StripedToBlockedShuffleOpEnEvPT3_j
; %bb.0:
	s_load_b32 s2, s[0:1], 0x8
	s_waitcnt lgkmcnt(0)
	s_cmp_eq_u32 s2, 0
	s_cbranch_scc1 .LBB52_3
; %bb.1:
	v_mbcnt_lo_u32_b32 v3, -1, 0
	v_dual_mov_b32 v4, 0 :: v_dual_mov_b32 v1, v0
	s_delay_alu instid0(VALU_DEP_2)
	v_dual_mov_b32 v2, 0 :: v_dual_lshlrev_b32 v5, 2, v3
	v_mov_b32_e32 v3, 0
.LBB52_2:                               ; =>This Inner Loop Header: Depth=1
	s_waitcnt lgkmcnt(3)
	ds_bpermute_b32 v1, v5, v1
	s_waitcnt lgkmcnt(3)
	ds_bpermute_b32 v2, v5, v2
	;; [unrolled: 2-line block ×4, first 2 shown]
	s_add_i32 s2, s2, -1
	s_delay_alu instid0(SALU_CYCLE_1)
	s_cmp_lg_u32 s2, 0
	; wave barrier
	s_cbranch_scc1 .LBB52_2
	s_branch .LBB52_4
.LBB52_3:
	v_dual_mov_b32 v4, 0 :: v_dual_mov_b32 v1, v0
	v_dual_mov_b32 v2, 0 :: v_dual_mov_b32 v3, 0
.LBB52_4:
	s_load_b64 s[0:1], s[0:1], 0x0
	v_lshl_or_b32 v5, s15, 8, v0
	v_mov_b32_e32 v6, 0
	s_delay_alu instid0(VALU_DEP_1) | instskip(SKIP_1) | instid1(VALU_DEP_1)
	v_lshlrev_b64 v[5:6], 4, v[5:6]
	s_waitcnt lgkmcnt(0)
	v_add_co_u32 v5, vcc_lo, s0, v5
	s_delay_alu instid0(VALU_DEP_2)
	v_add_co_ci_u32_e32 v6, vcc_lo, s1, v6, vcc_lo
	global_store_b128 v[5:6], v[1:4], off
	s_nop 0
	s_sendmsg sendmsg(MSG_DEALLOC_VGPRS)
	s_endpgm
	.section	.rodata,"a",@progbits
	.p2align	6, 0x0
	.amdhsa_kernel _Z20warp_exchange_kernelILj256ELj1ELj16EN6common25StripedToBlockedShuffleOpEnEvPT3_j
		.amdhsa_group_segment_fixed_size 0
		.amdhsa_private_segment_fixed_size 0
		.amdhsa_kernarg_size 12
		.amdhsa_user_sgpr_count 15
		.amdhsa_user_sgpr_dispatch_ptr 0
		.amdhsa_user_sgpr_queue_ptr 0
		.amdhsa_user_sgpr_kernarg_segment_ptr 1
		.amdhsa_user_sgpr_dispatch_id 0
		.amdhsa_user_sgpr_private_segment_size 0
		.amdhsa_wavefront_size32 1
		.amdhsa_uses_dynamic_stack 0
		.amdhsa_enable_private_segment 0
		.amdhsa_system_sgpr_workgroup_id_x 1
		.amdhsa_system_sgpr_workgroup_id_y 0
		.amdhsa_system_sgpr_workgroup_id_z 0
		.amdhsa_system_sgpr_workgroup_info 0
		.amdhsa_system_vgpr_workitem_id 0
		.amdhsa_next_free_vgpr 7
		.amdhsa_next_free_sgpr 16
		.amdhsa_reserve_vcc 1
		.amdhsa_float_round_mode_32 0
		.amdhsa_float_round_mode_16_64 0
		.amdhsa_float_denorm_mode_32 3
		.amdhsa_float_denorm_mode_16_64 3
		.amdhsa_dx10_clamp 1
		.amdhsa_ieee_mode 1
		.amdhsa_fp16_overflow 0
		.amdhsa_workgroup_processor_mode 1
		.amdhsa_memory_ordered 1
		.amdhsa_forward_progress 0
		.amdhsa_shared_vgpr_count 0
		.amdhsa_exception_fp_ieee_invalid_op 0
		.amdhsa_exception_fp_denorm_src 0
		.amdhsa_exception_fp_ieee_div_zero 0
		.amdhsa_exception_fp_ieee_overflow 0
		.amdhsa_exception_fp_ieee_underflow 0
		.amdhsa_exception_fp_ieee_inexact 0
		.amdhsa_exception_int_div_zero 0
	.end_amdhsa_kernel
	.section	.text._Z20warp_exchange_kernelILj256ELj1ELj16EN6common25StripedToBlockedShuffleOpEnEvPT3_j,"axG",@progbits,_Z20warp_exchange_kernelILj256ELj1ELj16EN6common25StripedToBlockedShuffleOpEnEvPT3_j,comdat
.Lfunc_end52:
	.size	_Z20warp_exchange_kernelILj256ELj1ELj16EN6common25StripedToBlockedShuffleOpEnEvPT3_j, .Lfunc_end52-_Z20warp_exchange_kernelILj256ELj1ELj16EN6common25StripedToBlockedShuffleOpEnEvPT3_j
                                        ; -- End function
	.section	.AMDGPU.csdata,"",@progbits
; Kernel info:
; codeLenInByte = 208
; NumSgprs: 18
; NumVgprs: 7
; ScratchSize: 0
; MemoryBound: 0
; FloatMode: 240
; IeeeMode: 1
; LDSByteSize: 0 bytes/workgroup (compile time only)
; SGPRBlocks: 2
; VGPRBlocks: 0
; NumSGPRsForWavesPerEU: 18
; NumVGPRsForWavesPerEU: 7
; Occupancy: 16
; WaveLimiterHint : 0
; COMPUTE_PGM_RSRC2:SCRATCH_EN: 0
; COMPUTE_PGM_RSRC2:USER_SGPR: 15
; COMPUTE_PGM_RSRC2:TRAP_HANDLER: 0
; COMPUTE_PGM_RSRC2:TGID_X_EN: 1
; COMPUTE_PGM_RSRC2:TGID_Y_EN: 0
; COMPUTE_PGM_RSRC2:TGID_Z_EN: 0
; COMPUTE_PGM_RSRC2:TIDIG_COMP_CNT: 0
	.section	.text._Z20warp_exchange_kernelILj256ELj1ELj32EN6common25StripedToBlockedShuffleOpEnEvPT3_j,"axG",@progbits,_Z20warp_exchange_kernelILj256ELj1ELj32EN6common25StripedToBlockedShuffleOpEnEvPT3_j,comdat
	.protected	_Z20warp_exchange_kernelILj256ELj1ELj32EN6common25StripedToBlockedShuffleOpEnEvPT3_j ; -- Begin function _Z20warp_exchange_kernelILj256ELj1ELj32EN6common25StripedToBlockedShuffleOpEnEvPT3_j
	.globl	_Z20warp_exchange_kernelILj256ELj1ELj32EN6common25StripedToBlockedShuffleOpEnEvPT3_j
	.p2align	8
	.type	_Z20warp_exchange_kernelILj256ELj1ELj32EN6common25StripedToBlockedShuffleOpEnEvPT3_j,@function
_Z20warp_exchange_kernelILj256ELj1ELj32EN6common25StripedToBlockedShuffleOpEnEvPT3_j: ; @_Z20warp_exchange_kernelILj256ELj1ELj32EN6common25StripedToBlockedShuffleOpEnEvPT3_j
; %bb.0:
	s_load_b32 s2, s[0:1], 0x8
	s_waitcnt lgkmcnt(0)
	s_cmp_eq_u32 s2, 0
	s_cbranch_scc1 .LBB53_3
; %bb.1:
	v_mbcnt_lo_u32_b32 v3, -1, 0
	v_dual_mov_b32 v4, 0 :: v_dual_mov_b32 v1, v0
	s_delay_alu instid0(VALU_DEP_2)
	v_dual_mov_b32 v2, 0 :: v_dual_lshlrev_b32 v5, 2, v3
	v_mov_b32_e32 v3, 0
.LBB53_2:                               ; =>This Inner Loop Header: Depth=1
	s_waitcnt lgkmcnt(3)
	ds_bpermute_b32 v1, v5, v1
	s_waitcnt lgkmcnt(3)
	ds_bpermute_b32 v2, v5, v2
	;; [unrolled: 2-line block ×4, first 2 shown]
	s_add_i32 s2, s2, -1
	s_delay_alu instid0(SALU_CYCLE_1)
	s_cmp_lg_u32 s2, 0
	; wave barrier
	s_cbranch_scc1 .LBB53_2
	s_branch .LBB53_4
.LBB53_3:
	v_dual_mov_b32 v4, 0 :: v_dual_mov_b32 v1, v0
	v_dual_mov_b32 v2, 0 :: v_dual_mov_b32 v3, 0
.LBB53_4:
	s_load_b64 s[0:1], s[0:1], 0x0
	v_lshl_or_b32 v5, s15, 8, v0
	v_mov_b32_e32 v6, 0
	s_delay_alu instid0(VALU_DEP_1) | instskip(SKIP_1) | instid1(VALU_DEP_1)
	v_lshlrev_b64 v[5:6], 4, v[5:6]
	s_waitcnt lgkmcnt(0)
	v_add_co_u32 v5, vcc_lo, s0, v5
	s_delay_alu instid0(VALU_DEP_2)
	v_add_co_ci_u32_e32 v6, vcc_lo, s1, v6, vcc_lo
	global_store_b128 v[5:6], v[1:4], off
	s_nop 0
	s_sendmsg sendmsg(MSG_DEALLOC_VGPRS)
	s_endpgm
	.section	.rodata,"a",@progbits
	.p2align	6, 0x0
	.amdhsa_kernel _Z20warp_exchange_kernelILj256ELj1ELj32EN6common25StripedToBlockedShuffleOpEnEvPT3_j
		.amdhsa_group_segment_fixed_size 0
		.amdhsa_private_segment_fixed_size 0
		.amdhsa_kernarg_size 12
		.amdhsa_user_sgpr_count 15
		.amdhsa_user_sgpr_dispatch_ptr 0
		.amdhsa_user_sgpr_queue_ptr 0
		.amdhsa_user_sgpr_kernarg_segment_ptr 1
		.amdhsa_user_sgpr_dispatch_id 0
		.amdhsa_user_sgpr_private_segment_size 0
		.amdhsa_wavefront_size32 1
		.amdhsa_uses_dynamic_stack 0
		.amdhsa_enable_private_segment 0
		.amdhsa_system_sgpr_workgroup_id_x 1
		.amdhsa_system_sgpr_workgroup_id_y 0
		.amdhsa_system_sgpr_workgroup_id_z 0
		.amdhsa_system_sgpr_workgroup_info 0
		.amdhsa_system_vgpr_workitem_id 0
		.amdhsa_next_free_vgpr 7
		.amdhsa_next_free_sgpr 16
		.amdhsa_reserve_vcc 1
		.amdhsa_float_round_mode_32 0
		.amdhsa_float_round_mode_16_64 0
		.amdhsa_float_denorm_mode_32 3
		.amdhsa_float_denorm_mode_16_64 3
		.amdhsa_dx10_clamp 1
		.amdhsa_ieee_mode 1
		.amdhsa_fp16_overflow 0
		.amdhsa_workgroup_processor_mode 1
		.amdhsa_memory_ordered 1
		.amdhsa_forward_progress 0
		.amdhsa_shared_vgpr_count 0
		.amdhsa_exception_fp_ieee_invalid_op 0
		.amdhsa_exception_fp_denorm_src 0
		.amdhsa_exception_fp_ieee_div_zero 0
		.amdhsa_exception_fp_ieee_overflow 0
		.amdhsa_exception_fp_ieee_underflow 0
		.amdhsa_exception_fp_ieee_inexact 0
		.amdhsa_exception_int_div_zero 0
	.end_amdhsa_kernel
	.section	.text._Z20warp_exchange_kernelILj256ELj1ELj32EN6common25StripedToBlockedShuffleOpEnEvPT3_j,"axG",@progbits,_Z20warp_exchange_kernelILj256ELj1ELj32EN6common25StripedToBlockedShuffleOpEnEvPT3_j,comdat
.Lfunc_end53:
	.size	_Z20warp_exchange_kernelILj256ELj1ELj32EN6common25StripedToBlockedShuffleOpEnEvPT3_j, .Lfunc_end53-_Z20warp_exchange_kernelILj256ELj1ELj32EN6common25StripedToBlockedShuffleOpEnEvPT3_j
                                        ; -- End function
	.section	.AMDGPU.csdata,"",@progbits
; Kernel info:
; codeLenInByte = 208
; NumSgprs: 18
; NumVgprs: 7
; ScratchSize: 0
; MemoryBound: 0
; FloatMode: 240
; IeeeMode: 1
; LDSByteSize: 0 bytes/workgroup (compile time only)
; SGPRBlocks: 2
; VGPRBlocks: 0
; NumSGPRsForWavesPerEU: 18
; NumVGPRsForWavesPerEU: 7
; Occupancy: 16
; WaveLimiterHint : 0
; COMPUTE_PGM_RSRC2:SCRATCH_EN: 0
; COMPUTE_PGM_RSRC2:USER_SGPR: 15
; COMPUTE_PGM_RSRC2:TRAP_HANDLER: 0
; COMPUTE_PGM_RSRC2:TGID_X_EN: 1
; COMPUTE_PGM_RSRC2:TGID_Y_EN: 0
; COMPUTE_PGM_RSRC2:TGID_Z_EN: 0
; COMPUTE_PGM_RSRC2:TIDIG_COMP_CNT: 0
	.section	.text._Z20warp_exchange_kernelILj256ELj4ELj16EN6common25StripedToBlockedShuffleOpEnEvPT3_j,"axG",@progbits,_Z20warp_exchange_kernelILj256ELj4ELj16EN6common25StripedToBlockedShuffleOpEnEvPT3_j,comdat
	.protected	_Z20warp_exchange_kernelILj256ELj4ELj16EN6common25StripedToBlockedShuffleOpEnEvPT3_j ; -- Begin function _Z20warp_exchange_kernelILj256ELj4ELj16EN6common25StripedToBlockedShuffleOpEnEvPT3_j
	.globl	_Z20warp_exchange_kernelILj256ELj4ELj16EN6common25StripedToBlockedShuffleOpEnEvPT3_j
	.p2align	8
	.type	_Z20warp_exchange_kernelILj256ELj4ELj16EN6common25StripedToBlockedShuffleOpEnEvPT3_j,@function
_Z20warp_exchange_kernelILj256ELj4ELj16EN6common25StripedToBlockedShuffleOpEnEvPT3_j: ; @_Z20warp_exchange_kernelILj256ELj4ELj16EN6common25StripedToBlockedShuffleOpEnEvPT3_j
; %bb.0:
	s_load_b32 s4, s[2:3], 0x8
	v_and_b32_e32 v7, 0x3ff, v0
	s_delay_alu instid0(VALU_DEP_1) | instskip(NEXT) | instid1(VALU_DEP_1)
	v_lshlrev_b32_e32 v17, 2, v7
	v_or_b32_e32 v9, 1, v17
	v_or_b32_e32 v5, 2, v17
	;; [unrolled: 1-line block ×3, first 2 shown]
	s_waitcnt lgkmcnt(0)
	s_cmp_eq_u32 s4, 0
	s_cbranch_scc1 .LBB54_3
; %bb.1:
	s_load_b64 s[0:1], s[0:1], 0x4
	v_bfe_u32 v8, v0, 10, 10
	v_bfe_u32 v11, v0, 20, 10
	v_mbcnt_lo_u32_b32 v0, -1, 0
	v_dual_mov_b32 v2, 0 :: v_dual_mov_b32 v15, 0
	v_dual_mov_b32 v16, 0 :: v_dual_mov_b32 v3, 0
	s_delay_alu instid0(VALU_DEP_3) | instskip(SKIP_3) | instid1(VALU_DEP_4)
	v_bfe_u32 v24, v0, 2, 2
	v_dual_mov_b32 v4, 0 :: v_dual_add_nc_u32 v13, 12, v0
	v_lshlrev_b32_e32 v14, 2, v0
	v_lshrrev_b32_e32 v20, 2, v0
	v_xor_b32_e32 v26, 2, v24
	v_dual_mov_b32 v6, v2 :: v_dual_add_nc_u32 v19, 4, v0
	v_dual_mov_b32 v10, v2 :: v_dual_and_b32 v21, 3, v0
	v_and_b32_e32 v12, 16, v0
	v_add_nc_u32_e32 v22, -1, v0
	s_waitcnt lgkmcnt(0)
	s_lshr_b32 s0, s0, 16
	v_xor_b32_e32 v0, 32, v14
	s_mul_i32 s0, s0, s1
	v_add_nc_u32_e32 v14, -1, v20
	v_mul_lo_u32 v7, s0, v7
	v_dual_mov_b32 v18, v2 :: v_dual_and_b32 v23, 3, v22
	v_xor_b32_e32 v28, 2, v21
	s_delay_alu instid0(VALU_DEP_2) | instskip(NEXT) | instid1(VALU_DEP_4)
	v_lshl_add_u32 v23, v23, 4, 0
	v_mad_u32_u24 v7, v8, s1, v7
	v_add_nc_u32_e32 v8, -1, v26
	s_delay_alu instid0(VALU_DEP_2) | instskip(SKIP_1) | instid1(VALU_DEP_3)
	v_add_lshl_u32 v22, v7, v11, 6
	v_and_b32_e32 v7, 3, v14
	v_and_b32_e32 v8, 3, v8
	s_delay_alu instid0(VALU_DEP_3) | instskip(NEXT) | instid1(VALU_DEP_3)
	v_lshl_or_b32 v24, v24, 4, v22
	v_lshl_or_b32 v25, v7, 4, v22
	s_delay_alu instid0(VALU_DEP_3)
	v_lshl_or_b32 v27, v8, 4, v22
	v_dual_mov_b32 v8, v4 :: v_dual_mov_b32 v7, v3
	v_and_or_b32 v13, v13, 15, v12
	v_and_or_b32 v12, v19, 15, v12
	v_lshl_add_u32 v19, v21, 4, 0
	v_lshl_or_b32 v26, v26, 4, v22
	s_delay_alu instid0(VALU_DEP_4) | instskip(NEXT) | instid1(VALU_DEP_4)
	v_lshlrev_b32_e32 v20, 2, v13
	v_lshlrev_b32_e32 v21, 2, v12
	v_dual_mov_b32 v13, v17 :: v_dual_add_nc_u32 v12, -1, v28
	v_lshl_add_u32 v28, v28, 4, 0
	s_delay_alu instid0(VALU_DEP_2) | instskip(NEXT) | instid1(VALU_DEP_1)
	v_dual_mov_b32 v14, v18 :: v_dual_and_b32 v11, 3, v12
	v_lshl_add_u32 v29, v11, 4, 0
	v_dual_mov_b32 v12, v4 :: v_dual_mov_b32 v11, v3
.LBB54_2:                               ; =>This Inner Loop Header: Depth=1
	ds_bpermute_b32 v30, v20, v9
	ds_bpermute_b32 v31, v20, v10
	;; [unrolled: 1-line block ×12, first 2 shown]
	s_add_i32 s4, s4, -1
	s_waitcnt vmcnt(0)
	ds_store_b128 v22, v[13:16]
	ds_store_b128 v22, v[9:12] offset:16
	ds_store_b128 v22, v[5:8] offset:32
	;; [unrolled: 1-line block ×3, first 2 shown]
	ds_store_b128 v24, v[13:16]
	s_waitcnt lgkmcnt(13)
	ds_store_b128 v25, v[30:33]
	s_waitcnt lgkmcnt(10)
	;; [unrolled: 2-line block ×3, first 2 shown]
	ds_store_b128 v27, v[38:41]
	ds_load_b128 v[1:4], v22 offset:16
	ds_load_b128 v[5:8], v22 offset:32
	;; [unrolled: 1-line block ×3, first 2 shown]
	s_cmp_lg_u32 s4, 0
	s_waitcnt lgkmcnt(2)
	ds_bpermute_b32 v13, v21, v1
	ds_bpermute_b32 v14, v21, v2
	ds_bpermute_b32 v15, v21, v3
	ds_bpermute_b32 v16, v21, v4
	s_waitcnt lgkmcnt(5)
	ds_bpermute_b32 v18, v0, v5
	ds_bpermute_b32 v30, v0, v6
	ds_bpermute_b32 v31, v0, v7
	ds_bpermute_b32 v32, v0, v8
	;; [unrolled: 5-line block ×3, first 2 shown]
	ds_load_b128 v[1:4], v22
	s_waitcnt lgkmcnt(12)
	v_mov_b32_dpp v5, v13 quad_perm:[3,0,1,2] row_mask:0xf bank_mask:0xf
	s_waitcnt lgkmcnt(11)
	v_mov_b32_dpp v6, v14 quad_perm:[3,0,1,2] row_mask:0xf bank_mask:0xf
	;; [unrolled: 2-line block ×12, first 2 shown]
	s_waitcnt lgkmcnt(0)
	s_clause 0x3
	scratch_store_b128 v19, v[1:4], off
	scratch_store_b128 v23, v[5:8], off
	;; [unrolled: 1-line block ×4, first 2 shown]
	s_clause 0x3
	scratch_load_b128 v[1:4], off, off offset:16
	scratch_load_b128 v[5:8], off, off offset:32
	;; [unrolled: 1-line block ×3, first 2 shown]
	scratch_load_b128 v[13:16], off, off
	; wave barrier
	s_waitcnt vmcnt(3)
	v_mov_b32_dpp v9, v1 quad_perm:[1,2,3,0] row_mask:0xf bank_mask:0xf
	v_mov_b32_dpp v10, v2 quad_perm:[1,2,3,0] row_mask:0xf bank_mask:0xf
	v_mov_b32_dpp v11, v3 quad_perm:[1,2,3,0] row_mask:0xf bank_mask:0xf
	v_mov_b32_dpp v12, v4 quad_perm:[1,2,3,0] row_mask:0xf bank_mask:0xf
	s_waitcnt vmcnt(2)
	v_mov_b32_dpp v5, v5 quad_perm:[2,3,0,1] row_mask:0xf bank_mask:0xf
	v_mov_b32_dpp v6, v6 quad_perm:[2,3,0,1] row_mask:0xf bank_mask:0xf
	v_mov_b32_dpp v7, v7 quad_perm:[2,3,0,1] row_mask:0xf bank_mask:0xf
	v_mov_b32_dpp v8, v8 quad_perm:[2,3,0,1] row_mask:0xf bank_mask:0xf
	;; [unrolled: 5-line block ×3, first 2 shown]
	s_cbranch_scc1 .LBB54_2
	s_branch .LBB54_4
.LBB54_3:
	v_dual_mov_b32 v18, 0 :: v_dual_mov_b32 v15, 0
	v_dual_mov_b32 v16, 0 :: v_dual_mov_b32 v3, 0
	;; [unrolled: 1-line block ×3, first 2 shown]
	s_delay_alu instid0(VALU_DEP_3)
	v_dual_mov_b32 v10, v18 :: v_dual_mov_b32 v11, v15
	v_dual_mov_b32 v6, v18 :: v_dual_mov_b32 v7, v15
	v_mov_b32_e32 v2, v18
	v_mov_b32_e32 v14, v18
	;; [unrolled: 1-line block ×4, first 2 shown]
.LBB54_4:
	s_load_b64 s[0:1], s[2:3], 0x0
	v_lshl_or_b32 v17, s15, 10, v17
	v_mov_b32_e32 v18, 0
	s_delay_alu instid0(VALU_DEP_1) | instskip(SKIP_1) | instid1(VALU_DEP_1)
	v_lshlrev_b64 v[17:18], 4, v[17:18]
	s_waitcnt lgkmcnt(0)
	v_add_co_u32 v17, vcc_lo, s0, v17
	s_delay_alu instid0(VALU_DEP_2)
	v_add_co_ci_u32_e32 v18, vcc_lo, s1, v18, vcc_lo
	s_waitcnt vmcnt(0)
	s_clause 0x3
	global_store_b128 v[17:18], v[13:16], off
	global_store_b128 v[17:18], v[9:12], off offset:16
	global_store_b128 v[17:18], v[5:8], off offset:32
	;; [unrolled: 1-line block ×3, first 2 shown]
	s_endpgm
	.section	.rodata,"a",@progbits
	.p2align	6, 0x0
	.amdhsa_kernel _Z20warp_exchange_kernelILj256ELj4ELj16EN6common25StripedToBlockedShuffleOpEnEvPT3_j
		.amdhsa_group_segment_fixed_size 16384
		.amdhsa_private_segment_fixed_size 80
		.amdhsa_kernarg_size 12
		.amdhsa_user_sgpr_count 15
		.amdhsa_user_sgpr_dispatch_ptr 1
		.amdhsa_user_sgpr_queue_ptr 0
		.amdhsa_user_sgpr_kernarg_segment_ptr 1
		.amdhsa_user_sgpr_dispatch_id 0
		.amdhsa_user_sgpr_private_segment_size 0
		.amdhsa_wavefront_size32 1
		.amdhsa_uses_dynamic_stack 0
		.amdhsa_enable_private_segment 1
		.amdhsa_system_sgpr_workgroup_id_x 1
		.amdhsa_system_sgpr_workgroup_id_y 0
		.amdhsa_system_sgpr_workgroup_id_z 0
		.amdhsa_system_sgpr_workgroup_info 0
		.amdhsa_system_vgpr_workitem_id 2
		.amdhsa_next_free_vgpr 42
		.amdhsa_next_free_sgpr 16
		.amdhsa_reserve_vcc 1
		.amdhsa_float_round_mode_32 0
		.amdhsa_float_round_mode_16_64 0
		.amdhsa_float_denorm_mode_32 3
		.amdhsa_float_denorm_mode_16_64 3
		.amdhsa_dx10_clamp 1
		.amdhsa_ieee_mode 1
		.amdhsa_fp16_overflow 0
		.amdhsa_workgroup_processor_mode 1
		.amdhsa_memory_ordered 1
		.amdhsa_forward_progress 0
		.amdhsa_shared_vgpr_count 0
		.amdhsa_exception_fp_ieee_invalid_op 0
		.amdhsa_exception_fp_denorm_src 0
		.amdhsa_exception_fp_ieee_div_zero 0
		.amdhsa_exception_fp_ieee_overflow 0
		.amdhsa_exception_fp_ieee_underflow 0
		.amdhsa_exception_fp_ieee_inexact 0
		.amdhsa_exception_int_div_zero 0
	.end_amdhsa_kernel
	.section	.text._Z20warp_exchange_kernelILj256ELj4ELj16EN6common25StripedToBlockedShuffleOpEnEvPT3_j,"axG",@progbits,_Z20warp_exchange_kernelILj256ELj4ELj16EN6common25StripedToBlockedShuffleOpEnEvPT3_j,comdat
.Lfunc_end54:
	.size	_Z20warp_exchange_kernelILj256ELj4ELj16EN6common25StripedToBlockedShuffleOpEnEvPT3_j, .Lfunc_end54-_Z20warp_exchange_kernelILj256ELj4ELj16EN6common25StripedToBlockedShuffleOpEnEvPT3_j
                                        ; -- End function
	.section	.AMDGPU.csdata,"",@progbits
; Kernel info:
; codeLenInByte = 1180
; NumSgprs: 18
; NumVgprs: 42
; ScratchSize: 80
; MemoryBound: 0
; FloatMode: 240
; IeeeMode: 1
; LDSByteSize: 16384 bytes/workgroup (compile time only)
; SGPRBlocks: 2
; VGPRBlocks: 5
; NumSGPRsForWavesPerEU: 18
; NumVGPRsForWavesPerEU: 42
; Occupancy: 16
; WaveLimiterHint : 0
; COMPUTE_PGM_RSRC2:SCRATCH_EN: 1
; COMPUTE_PGM_RSRC2:USER_SGPR: 15
; COMPUTE_PGM_RSRC2:TRAP_HANDLER: 0
; COMPUTE_PGM_RSRC2:TGID_X_EN: 1
; COMPUTE_PGM_RSRC2:TGID_Y_EN: 0
; COMPUTE_PGM_RSRC2:TGID_Z_EN: 0
; COMPUTE_PGM_RSRC2:TIDIG_COMP_CNT: 2
	.section	.text._Z20warp_exchange_kernelILj256ELj4ELj32EN6common25StripedToBlockedShuffleOpEnEvPT3_j,"axG",@progbits,_Z20warp_exchange_kernelILj256ELj4ELj32EN6common25StripedToBlockedShuffleOpEnEvPT3_j,comdat
	.protected	_Z20warp_exchange_kernelILj256ELj4ELj32EN6common25StripedToBlockedShuffleOpEnEvPT3_j ; -- Begin function _Z20warp_exchange_kernelILj256ELj4ELj32EN6common25StripedToBlockedShuffleOpEnEvPT3_j
	.globl	_Z20warp_exchange_kernelILj256ELj4ELj32EN6common25StripedToBlockedShuffleOpEnEvPT3_j
	.p2align	8
	.type	_Z20warp_exchange_kernelILj256ELj4ELj32EN6common25StripedToBlockedShuffleOpEnEvPT3_j,@function
_Z20warp_exchange_kernelILj256ELj4ELj32EN6common25StripedToBlockedShuffleOpEnEvPT3_j: ; @_Z20warp_exchange_kernelILj256ELj4ELj32EN6common25StripedToBlockedShuffleOpEnEvPT3_j
; %bb.0:
	s_load_b32 s5, s[0:1], 0x8
	v_dual_mov_b32 v17, 0 :: v_dual_lshlrev_b32 v16, 2, v0
	s_delay_alu instid0(VALU_DEP_1)
	v_or_b32_e32 v22, 1, v16
	v_or_b32_e32 v20, 2, v16
	;; [unrolled: 1-line block ×3, first 2 shown]
	s_waitcnt lgkmcnt(0)
	s_cmp_eq_u32 s5, 0
	s_cbranch_scc1 .LBB55_27
; %bb.1:
	v_mbcnt_lo_u32_b32 v0, -1, 0
	v_dual_mov_b32 v29, 0 :: v_dual_mov_b32 v30, 0
	v_dual_mov_b32 v31, 0 :: v_dual_mov_b32 v24, 0
	s_delay_alu instid0(VALU_DEP_3) | instskip(SKIP_2) | instid1(VALU_DEP_3)
	v_dual_mov_b32 v32, 0 :: v_dual_lshlrev_b32 v1, 4, v0
	v_lshrrev_b32_e32 v2, 3, v0
	v_dual_mov_b32 v33, 0 :: v_dual_mov_b32 v34, 0
	v_dual_mov_b32 v36, 0 :: v_dual_and_b32 v25, 0x70, v1
	v_cmp_gt_u32_e32 vcc_lo, 8, v0
	s_delay_alu instid0(VALU_DEP_4)
	v_cmp_eq_u32_e64 s2, 1, v2
	v_cmp_eq_u32_e64 s3, 2, v2
	v_cmp_eq_u32_e64 s4, 3, v2
	v_or_b32_e32 v26, 4, v25
	v_or_b32_e32 v27, 8, v25
	;; [unrolled: 1-line block ×3, first 2 shown]
	v_mov_b32_e32 v19, 0
	v_mov_b32_e32 v23, 0
	;; [unrolled: 1-line block ×4, first 2 shown]
	s_branch .LBB55_3
.LBB55_2:                               ;   in Loop: Header=BB55_3 Depth=1
	s_or_b32 exec_lo, exec_lo, s6
	s_waitcnt lgkmcnt(3)
	v_dual_mov_b32 v18, v12 :: v_dual_mov_b32 v17, v13
	v_dual_mov_b32 v29, v14 :: v_dual_mov_b32 v30, v15
	s_waitcnt lgkmcnt(1)
	v_dual_mov_b32 v20, v8 :: v_dual_mov_b32 v31, v9
	v_dual_mov_b32 v32, v10 :: v_dual_mov_b32 v33, v11
	v_dual_mov_b32 v22, v4 :: v_dual_mov_b32 v19, v5
	v_dual_mov_b32 v23, v6 :: v_dual_mov_b32 v24, v7
	s_waitcnt lgkmcnt(0)
	v_dual_mov_b32 v21, v0 :: v_dual_mov_b32 v34, v1
	v_dual_mov_b32 v35, v2 :: v_dual_mov_b32 v36, v3
	s_add_i32 s5, s5, -1
	s_delay_alu instid0(SALU_CYCLE_1)
	s_cmp_lg_u32 s5, 0
	; wave barrier
	s_cbranch_scc0 .LBB55_28
.LBB55_3:                               ; =>This Inner Loop Header: Depth=1
	ds_bpermute_b32 v0, v25, v21
	ds_bpermute_b32 v1, v25, v34
	;; [unrolled: 1-line block ×4, first 2 shown]
	s_and_saveexec_b32 s6, vcc_lo
	s_delay_alu instid0(SALU_CYCLE_1)
	s_or_b32 exec_lo, exec_lo, s6
	ds_bpermute_b32 v4, v25, v22
	ds_bpermute_b32 v5, v25, v19
	;; [unrolled: 1-line block ×4, first 2 shown]
	s_and_saveexec_b32 s6, s2
	s_cbranch_execz .LBB55_5
; %bb.4:                                ;   in Loop: Header=BB55_3 Depth=1
	s_waitcnt lgkmcnt(2)
	v_dual_mov_b32 v0, v4 :: v_dual_mov_b32 v1, v5
	s_waitcnt lgkmcnt(0)
	v_dual_mov_b32 v2, v6 :: v_dual_mov_b32 v3, v7
.LBB55_5:                               ;   in Loop: Header=BB55_3 Depth=1
	s_or_b32 exec_lo, exec_lo, s6
	s_waitcnt lgkmcnt(3)
	ds_bpermute_b32 v4, v25, v20
	s_waitcnt lgkmcnt(3)
	ds_bpermute_b32 v5, v25, v31
	s_waitcnt lgkmcnt(3)
	ds_bpermute_b32 v6, v25, v32
	s_waitcnt lgkmcnt(3)
	ds_bpermute_b32 v7, v25, v33
	s_and_saveexec_b32 s6, s3
	s_cbranch_execz .LBB55_7
; %bb.6:                                ;   in Loop: Header=BB55_3 Depth=1
	s_waitcnt lgkmcnt(2)
	v_dual_mov_b32 v0, v4 :: v_dual_mov_b32 v1, v5
	s_waitcnt lgkmcnt(0)
	v_dual_mov_b32 v2, v6 :: v_dual_mov_b32 v3, v7
.LBB55_7:                               ;   in Loop: Header=BB55_3 Depth=1
	s_or_b32 exec_lo, exec_lo, s6
	s_waitcnt lgkmcnt(3)
	ds_bpermute_b32 v4, v25, v18
	s_waitcnt lgkmcnt(3)
	ds_bpermute_b32 v5, v25, v17
	s_waitcnt lgkmcnt(3)
	ds_bpermute_b32 v6, v25, v29
	s_waitcnt lgkmcnt(3)
	ds_bpermute_b32 v7, v25, v30
	;; [unrolled: 17-line block ×3, first 2 shown]
	s_and_saveexec_b32 s6, vcc_lo
	s_delay_alu instid0(SALU_CYCLE_1)
	s_or_b32 exec_lo, exec_lo, s6
	ds_bpermute_b32 v8, v26, v22
	ds_bpermute_b32 v9, v26, v19
	;; [unrolled: 1-line block ×4, first 2 shown]
	s_and_saveexec_b32 s6, s2
	s_cbranch_execz .LBB55_11
; %bb.10:                               ;   in Loop: Header=BB55_3 Depth=1
	s_waitcnt lgkmcnt(2)
	v_dual_mov_b32 v4, v8 :: v_dual_mov_b32 v5, v9
	s_waitcnt lgkmcnt(0)
	v_dual_mov_b32 v6, v10 :: v_dual_mov_b32 v7, v11
.LBB55_11:                              ;   in Loop: Header=BB55_3 Depth=1
	s_or_b32 exec_lo, exec_lo, s6
	s_waitcnt lgkmcnt(3)
	ds_bpermute_b32 v8, v26, v20
	s_waitcnt lgkmcnt(3)
	ds_bpermute_b32 v9, v26, v31
	s_waitcnt lgkmcnt(3)
	ds_bpermute_b32 v10, v26, v32
	s_waitcnt lgkmcnt(3)
	ds_bpermute_b32 v11, v26, v33
	s_and_saveexec_b32 s6, s3
	s_cbranch_execz .LBB55_13
; %bb.12:                               ;   in Loop: Header=BB55_3 Depth=1
	s_waitcnt lgkmcnt(2)
	v_dual_mov_b32 v4, v8 :: v_dual_mov_b32 v5, v9
	s_waitcnt lgkmcnt(0)
	v_dual_mov_b32 v6, v10 :: v_dual_mov_b32 v7, v11
.LBB55_13:                              ;   in Loop: Header=BB55_3 Depth=1
	s_or_b32 exec_lo, exec_lo, s6
	s_waitcnt lgkmcnt(3)
	ds_bpermute_b32 v8, v26, v18
	s_waitcnt lgkmcnt(3)
	ds_bpermute_b32 v9, v26, v17
	s_waitcnt lgkmcnt(3)
	ds_bpermute_b32 v10, v26, v29
	s_waitcnt lgkmcnt(3)
	ds_bpermute_b32 v11, v26, v30
	;; [unrolled: 17-line block ×3, first 2 shown]
	s_and_saveexec_b32 s6, vcc_lo
	s_delay_alu instid0(SALU_CYCLE_1)
	s_or_b32 exec_lo, exec_lo, s6
	ds_bpermute_b32 v12, v27, v22
	ds_bpermute_b32 v13, v27, v19
	;; [unrolled: 1-line block ×4, first 2 shown]
	s_and_saveexec_b32 s6, s2
	s_cbranch_execz .LBB55_17
; %bb.16:                               ;   in Loop: Header=BB55_3 Depth=1
	s_waitcnt lgkmcnt(2)
	v_dual_mov_b32 v8, v12 :: v_dual_mov_b32 v9, v13
	s_waitcnt lgkmcnt(0)
	v_dual_mov_b32 v10, v14 :: v_dual_mov_b32 v11, v15
.LBB55_17:                              ;   in Loop: Header=BB55_3 Depth=1
	s_or_b32 exec_lo, exec_lo, s6
	s_waitcnt lgkmcnt(3)
	ds_bpermute_b32 v12, v27, v20
	s_waitcnt lgkmcnt(3)
	ds_bpermute_b32 v13, v27, v31
	s_waitcnt lgkmcnt(3)
	ds_bpermute_b32 v14, v27, v32
	s_waitcnt lgkmcnt(3)
	ds_bpermute_b32 v15, v27, v33
	s_and_saveexec_b32 s6, s3
	s_cbranch_execz .LBB55_19
; %bb.18:                               ;   in Loop: Header=BB55_3 Depth=1
	s_waitcnt lgkmcnt(2)
	v_dual_mov_b32 v8, v12 :: v_dual_mov_b32 v9, v13
	s_waitcnt lgkmcnt(0)
	v_dual_mov_b32 v10, v14 :: v_dual_mov_b32 v11, v15
.LBB55_19:                              ;   in Loop: Header=BB55_3 Depth=1
	s_or_b32 exec_lo, exec_lo, s6
	s_waitcnt lgkmcnt(3)
	ds_bpermute_b32 v12, v27, v18
	s_waitcnt lgkmcnt(3)
	ds_bpermute_b32 v13, v27, v17
	s_waitcnt lgkmcnt(3)
	ds_bpermute_b32 v14, v27, v29
	s_waitcnt lgkmcnt(3)
	ds_bpermute_b32 v15, v27, v30
	;; [unrolled: 17-line block ×3, first 2 shown]
	s_and_saveexec_b32 s6, vcc_lo
	s_delay_alu instid0(SALU_CYCLE_1)
	s_or_b32 exec_lo, exec_lo, s6
	ds_bpermute_b32 v21, v28, v22
	ds_bpermute_b32 v22, v28, v19
	;; [unrolled: 1-line block ×4, first 2 shown]
	s_and_saveexec_b32 s6, s2
	s_cbranch_execz .LBB55_23
; %bb.22:                               ;   in Loop: Header=BB55_3 Depth=1
	s_waitcnt lgkmcnt(2)
	v_dual_mov_b32 v12, v21 :: v_dual_mov_b32 v13, v22
	s_waitcnt lgkmcnt(0)
	v_dual_mov_b32 v14, v23 :: v_dual_mov_b32 v15, v24
.LBB55_23:                              ;   in Loop: Header=BB55_3 Depth=1
	s_or_b32 exec_lo, exec_lo, s6
	ds_bpermute_b32 v19, v28, v20
	ds_bpermute_b32 v20, v28, v31
	s_waitcnt lgkmcnt(5)
	ds_bpermute_b32 v21, v28, v32
	s_waitcnt lgkmcnt(5)
	ds_bpermute_b32 v22, v28, v33
	s_and_saveexec_b32 s6, s3
	s_cbranch_execz .LBB55_25
; %bb.24:                               ;   in Loop: Header=BB55_3 Depth=1
	s_waitcnt lgkmcnt(2)
	v_dual_mov_b32 v12, v19 :: v_dual_mov_b32 v13, v20
	s_waitcnt lgkmcnt(0)
	v_dual_mov_b32 v14, v21 :: v_dual_mov_b32 v15, v22
.LBB55_25:                              ;   in Loop: Header=BB55_3 Depth=1
	s_or_b32 exec_lo, exec_lo, s6
	ds_bpermute_b32 v18, v28, v18
	s_waitcnt lgkmcnt(4)
	ds_bpermute_b32 v19, v28, v17
	s_waitcnt lgkmcnt(4)
	;; [unrolled: 2-line block ×3, first 2 shown]
	ds_bpermute_b32 v21, v28, v30
	s_and_saveexec_b32 s6, s4
	s_cbranch_execz .LBB55_2
; %bb.26:                               ;   in Loop: Header=BB55_3 Depth=1
	s_waitcnt lgkmcnt(2)
	v_dual_mov_b32 v12, v18 :: v_dual_mov_b32 v13, v19
	s_waitcnt lgkmcnt(0)
	v_dual_mov_b32 v14, v20 :: v_dual_mov_b32 v15, v21
	s_branch .LBB55_2
.LBB55_27:
	v_dual_mov_b32 v2, 0 :: v_dual_mov_b32 v23, v17
	v_dual_mov_b32 v3, 0 :: v_dual_mov_b32 v14, 0
	;; [unrolled: 1-line block ×3, first 2 shown]
	v_mov_b32_e32 v19, v17
	v_dual_mov_b32 v15, 0 :: v_dual_mov_b32 v0, v16
	s_delay_alu instid0(VALU_DEP_4)
	v_mov_b32_e32 v7, v3
	v_dual_mov_b32 v1, v17 :: v_dual_mov_b32 v8, v20
	v_dual_mov_b32 v6, v2 :: v_dual_mov_b32 v11, v3
	;; [unrolled: 1-line block ×4, first 2 shown]
	v_mov_b32_e32 v13, v19
.LBB55_28:
	s_load_b64 s[0:1], s[0:1], 0x0
	v_lshl_or_b32 v16, s15, 10, v16
	v_mov_b32_e32 v17, 0
	s_delay_alu instid0(VALU_DEP_1) | instskip(SKIP_1) | instid1(VALU_DEP_1)
	v_lshlrev_b64 v[16:17], 4, v[16:17]
	s_waitcnt lgkmcnt(0)
	v_add_co_u32 v16, vcc_lo, s0, v16
	s_delay_alu instid0(VALU_DEP_2)
	v_add_co_ci_u32_e32 v17, vcc_lo, s1, v17, vcc_lo
	s_clause 0x3
	global_store_b128 v[16:17], v[0:3], off
	global_store_b128 v[16:17], v[4:7], off offset:16
	global_store_b128 v[16:17], v[8:11], off offset:32
	;; [unrolled: 1-line block ×3, first 2 shown]
	s_nop 0
	s_sendmsg sendmsg(MSG_DEALLOC_VGPRS)
	s_endpgm
	.section	.rodata,"a",@progbits
	.p2align	6, 0x0
	.amdhsa_kernel _Z20warp_exchange_kernelILj256ELj4ELj32EN6common25StripedToBlockedShuffleOpEnEvPT3_j
		.amdhsa_group_segment_fixed_size 0
		.amdhsa_private_segment_fixed_size 0
		.amdhsa_kernarg_size 12
		.amdhsa_user_sgpr_count 15
		.amdhsa_user_sgpr_dispatch_ptr 0
		.amdhsa_user_sgpr_queue_ptr 0
		.amdhsa_user_sgpr_kernarg_segment_ptr 1
		.amdhsa_user_sgpr_dispatch_id 0
		.amdhsa_user_sgpr_private_segment_size 0
		.amdhsa_wavefront_size32 1
		.amdhsa_uses_dynamic_stack 0
		.amdhsa_enable_private_segment 0
		.amdhsa_system_sgpr_workgroup_id_x 1
		.amdhsa_system_sgpr_workgroup_id_y 0
		.amdhsa_system_sgpr_workgroup_id_z 0
		.amdhsa_system_sgpr_workgroup_info 0
		.amdhsa_system_vgpr_workitem_id 0
		.amdhsa_next_free_vgpr 37
		.amdhsa_next_free_sgpr 16
		.amdhsa_reserve_vcc 1
		.amdhsa_float_round_mode_32 0
		.amdhsa_float_round_mode_16_64 0
		.amdhsa_float_denorm_mode_32 3
		.amdhsa_float_denorm_mode_16_64 3
		.amdhsa_dx10_clamp 1
		.amdhsa_ieee_mode 1
		.amdhsa_fp16_overflow 0
		.amdhsa_workgroup_processor_mode 1
		.amdhsa_memory_ordered 1
		.amdhsa_forward_progress 0
		.amdhsa_shared_vgpr_count 0
		.amdhsa_exception_fp_ieee_invalid_op 0
		.amdhsa_exception_fp_denorm_src 0
		.amdhsa_exception_fp_ieee_div_zero 0
		.amdhsa_exception_fp_ieee_overflow 0
		.amdhsa_exception_fp_ieee_underflow 0
		.amdhsa_exception_fp_ieee_inexact 0
		.amdhsa_exception_int_div_zero 0
	.end_amdhsa_kernel
	.section	.text._Z20warp_exchange_kernelILj256ELj4ELj32EN6common25StripedToBlockedShuffleOpEnEvPT3_j,"axG",@progbits,_Z20warp_exchange_kernelILj256ELj4ELj32EN6common25StripedToBlockedShuffleOpEnEvPT3_j,comdat
.Lfunc_end55:
	.size	_Z20warp_exchange_kernelILj256ELj4ELj32EN6common25StripedToBlockedShuffleOpEnEvPT3_j, .Lfunc_end55-_Z20warp_exchange_kernelILj256ELj4ELj32EN6common25StripedToBlockedShuffleOpEnEvPT3_j
                                        ; -- End function
	.section	.AMDGPU.csdata,"",@progbits
; Kernel info:
; codeLenInByte = 1600
; NumSgprs: 18
; NumVgprs: 37
; ScratchSize: 0
; MemoryBound: 0
; FloatMode: 240
; IeeeMode: 1
; LDSByteSize: 0 bytes/workgroup (compile time only)
; SGPRBlocks: 2
; VGPRBlocks: 4
; NumSGPRsForWavesPerEU: 18
; NumVGPRsForWavesPerEU: 37
; Occupancy: 16
; WaveLimiterHint : 0
; COMPUTE_PGM_RSRC2:SCRATCH_EN: 0
; COMPUTE_PGM_RSRC2:USER_SGPR: 15
; COMPUTE_PGM_RSRC2:TRAP_HANDLER: 0
; COMPUTE_PGM_RSRC2:TGID_X_EN: 1
; COMPUTE_PGM_RSRC2:TGID_Y_EN: 0
; COMPUTE_PGM_RSRC2:TGID_Z_EN: 0
; COMPUTE_PGM_RSRC2:TIDIG_COMP_CNT: 0
	.section	.text._Z20warp_exchange_kernelILj256ELj16ELj16EN6common25StripedToBlockedShuffleOpEnEvPT3_j,"axG",@progbits,_Z20warp_exchange_kernelILj256ELj16ELj16EN6common25StripedToBlockedShuffleOpEnEvPT3_j,comdat
	.protected	_Z20warp_exchange_kernelILj256ELj16ELj16EN6common25StripedToBlockedShuffleOpEnEvPT3_j ; -- Begin function _Z20warp_exchange_kernelILj256ELj16ELj16EN6common25StripedToBlockedShuffleOpEnEvPT3_j
	.globl	_Z20warp_exchange_kernelILj256ELj16ELj16EN6common25StripedToBlockedShuffleOpEnEvPT3_j
	.p2align	8
	.type	_Z20warp_exchange_kernelILj256ELj16ELj16EN6common25StripedToBlockedShuffleOpEnEvPT3_j,@function
_Z20warp_exchange_kernelILj256ELj16ELj16EN6common25StripedToBlockedShuffleOpEnEvPT3_j: ; @_Z20warp_exchange_kernelILj256ELj16ELj16EN6common25StripedToBlockedShuffleOpEnEvPT3_j
; %bb.0:
	s_load_b32 s5, s[0:1], 0x8
	v_lshlrev_b32_e32 v64, 4, v0
	s_delay_alu instid0(VALU_DEP_1)
	v_or_b32_e32 v56, 1, v64
	v_or_b32_e32 v52, 2, v64
	;; [unrolled: 1-line block ×15, first 2 shown]
	s_waitcnt lgkmcnt(0)
	s_cmp_eq_u32 s5, 0
	s_cbranch_scc1 .LBB56_3
; %bb.1:
	v_mbcnt_lo_u32_b32 v6, -1, 0
	v_dual_mov_b32 v1, 0 :: v_dual_mov_b32 v2, 0
	s_movk_i32 s2, 0x80
	s_delay_alu instid0(VALU_DEP_2) | instskip(SKIP_1) | instid1(VALU_DEP_3)
	v_dual_mov_b32 v22, 0xc0 :: v_dual_and_b32 v7, 8, v6
	v_mov_b32_e32 v3, 0
	v_mov_b32_e32 v29, v1
	v_mov_b32_e32 v5, v1
	s_delay_alu instid0(VALU_DEP_4) | instskip(SKIP_3) | instid1(VALU_DEP_4)
	v_dual_mov_b32 v17, v1 :: v_dual_lshlrev_b32 v10, 4, v7
	v_and_b32_e32 v15, 4, v6
	v_dual_mov_b32 v47, v3 :: v_dual_mov_b32 v46, v2
	v_mov_b32_e32 v11, 0xa0
	v_xad_u32 v66, v10, s2, 0
	s_delay_alu instid0(VALU_DEP_4)
	v_lshlrev_b32_e32 v23, 4, v15
	v_cmp_eq_u32_e64 s2, 0, v15
	v_and_b32_e32 v15, 2, v6
	v_dual_mov_b32 v43, v3 :: v_dual_and_b32 v6, 1, v6
	v_mov_b32_e32 v10, 0x90
	v_mov_b32_e32 v42, v2
	s_delay_alu instid0(VALU_DEP_4) | instskip(NEXT) | instid1(VALU_DEP_4)
	v_cmp_eq_u32_e64 s3, 0, v15
	v_cmp_eq_u32_e64 s4, 0, v6
	v_dual_mov_b32 v59, v3 :: v_dual_mov_b32 v58, v2
	v_dual_mov_b32 v9, v1 :: v_dual_mov_b32 v14, 0xb0
	s_delay_alu instid0(VALU_DEP_4) | instskip(SKIP_4) | instid1(VALU_DEP_4)
	v_cndmask_b32_e64 v77, 0x80, v11, s3
	v_lshlrev_b32_e32 v11, 4, v6
	v_cndmask_b32_e64 v83, 0x80, v10, s4
	v_dual_mov_b32 v13, v1 :: v_dual_mov_b32 v18, 0xd0
	v_mov_b32_e32 v25, v1
	v_xad_u32 v81, v11, 16, 0
	v_mov_b32_e32 v11, v3
	v_mov_b32_e32 v19, 0xe0
	v_xad_u32 v70, v23, 64, 0
	v_mov_b32_e32 v23, 0x70
	v_cndmask_b32_e64 v71, 0x80, v22, s2
	v_lshlrev_b32_e32 v22, 4, v15
	v_mov_b32_e32 v10, v2
	v_cmp_eq_u32_e32 vcc_lo, 0, v7
	v_mov_b32_e32 v7, 0xf0
	v_mov_b32_e32 v65, v1
	v_dual_mov_b32 v39, v3 :: v_dual_mov_b32 v38, v2
	v_mov_b32_e32 v51, v3
	v_mov_b32_e32 v55, v3
	v_dual_cndmask_b32 v67, 0x50, v18 :: v_dual_mov_b32 v62, 0
	v_cndmask_b32_e64 v72, 0x90, v18, s2
	v_xad_u32 v75, v22, 32, 0
	v_cndmask_b32_e64 v76, 0x50, v23, s3
	v_cndmask_b32_e64 v78, 0x90, v14, s3
	;; [unrolled: 1-line block ×5, first 2 shown]
	v_mov_b32_e32 v15, v3
	v_mov_b32_e32 v23, v3
	;; [unrolled: 1-line block ×4, first 2 shown]
	v_dual_mov_b32 v35, v3 :: v_dual_mov_b32 v50, v2
	v_dual_mov_b32 v21, v1 :: v_dual_cndmask_b32 v68, 0x60, v19
	v_cndmask_b32_e64 v73, 0xa0, v19, s2
	v_cndmask_b32_e64 v79, 0xc0, v19, s3
	v_dual_mov_b32 v19, v3 :: v_dual_mov_b32 v54, v2
	v_dual_cndmask_b32 v69, 0x70, v7 :: v_dual_mov_b32 v60, v64
	v_cndmask_b32_e64 v74, 0xb0, v7, s2
	v_cndmask_b32_e64 v80, 0xd0, v7, s3
	;; [unrolled: 1-line block ×3, first 2 shown]
	v_mov_b32_e32 v7, v3
	v_dual_mov_b32 v33, v1 :: v_dual_mov_b32 v6, v2
	v_dual_mov_b32 v37, v1 :: v_dual_mov_b32 v14, v2
	;; [unrolled: 1-line block ×7, first 2 shown]
	v_mov_b32_e32 v63, 0
	v_mov_b32_e32 v61, v65
	v_cndmask_b32_e64 v65, 16, 0x90, vcc_lo
	v_cndmask_b32_e64 v87, 32, 0xa0, vcc_lo
	v_cndmask_b32_e64 v88, 16, 0x50, s2
	v_cndmask_b32_e64 v89, 16, 48, s3
	;; [unrolled: 1-line block ×3, first 2 shown]
	v_cndmask_b32_e64 v91, 48, 0xb0, vcc_lo
	v_cndmask_b32_e64 v92, 64, 0xc0, vcc_lo
	v_cndmask_b32_e64 v93, 32, 0x60, s2
	v_cndmask_b32_e64 v94, 48, 0x70, s2
	;; [unrolled: 1-line block ×4, first 2 shown]
.LBB56_2:                               ; =>This Inner Loop Header: Depth=1
	s_waitcnt vmcnt(15)
	scratch_store_b128 off, v[60:63], off
	s_waitcnt vmcnt(9)
	scratch_store_b128 off, v[56:59], off offset:16
	s_waitcnt vmcnt(8)
	s_clause 0x5
	scratch_store_b128 off, v[52:55], off offset:32
	scratch_store_b128 off, v[48:51], off offset:48
	;; [unrolled: 1-line block ×6, first 2 shown]
	s_waitcnt vmcnt(7)
	scratch_store_b128 off, v[28:31], off offset:128
	scratch_load_b128 v[28:31], v66, off
	s_add_i32 s5, s5, -1
	s_delay_alu instid0(SALU_CYCLE_1)
	s_cmp_lg_u32 s5, 0
	s_waitcnt vmcnt(0)
	ds_swizzle_b32 v28, v28 offset:swizzle(SWAP,8)
	ds_swizzle_b32 v29, v29 offset:swizzle(SWAP,8)
	ds_swizzle_b32 v30, v30 offset:swizzle(SWAP,8)
	ds_swizzle_b32 v31, v31 offset:swizzle(SWAP,8)
	scratch_store_b128 off, v[24:27], off offset:144
	s_waitcnt lgkmcnt(0)
	scratch_store_b128 v66, v[28:31], off
	scratch_load_b128 v[24:27], v65, off
	s_waitcnt vmcnt(0)
	ds_swizzle_b32 v24, v24 offset:swizzle(SWAP,8)
	ds_swizzle_b32 v25, v25 offset:swizzle(SWAP,8)
	ds_swizzle_b32 v26, v26 offset:swizzle(SWAP,8)
	ds_swizzle_b32 v27, v27 offset:swizzle(SWAP,8)
	scratch_store_b128 off, v[20:23], off offset:160
	s_waitcnt lgkmcnt(0)
	scratch_store_b128 v65, v[24:27], off
	scratch_load_b128 v[20:23], v87, off
	;; [unrolled: 9-line block ×4, first 2 shown]
	s_waitcnt vmcnt(0)
	ds_swizzle_b32 v12, v12 offset:swizzle(SWAP,8)
	ds_swizzle_b32 v13, v13 offset:swizzle(SWAP,8)
	;; [unrolled: 1-line block ×4, first 2 shown]
	scratch_store_b128 off, v[8:11], off offset:208
	s_waitcnt lgkmcnt(0)
	scratch_store_b128 v92, v[12:15], off
	s_clause 0x1
	scratch_load_b128 v[8:11], v67, off
	scratch_load_b128 v[12:15], v70, off
	scratch_store_b128 off, v[4:7], off offset:224
	s_waitcnt vmcnt(1)
	ds_swizzle_b32 v4, v8 offset:swizzle(SWAP,8)
	ds_swizzle_b32 v5, v9 offset:swizzle(SWAP,8)
	;; [unrolled: 1-line block ×4, first 2 shown]
	s_waitcnt vmcnt(0)
	ds_swizzle_b32 v8, v12 offset:swizzle(SWAP,4)
	ds_swizzle_b32 v9, v13 offset:swizzle(SWAP,4)
	;; [unrolled: 1-line block ×4, first 2 shown]
	s_waitcnt lgkmcnt(4)
	scratch_store_b128 v67, v[4:7], off
	s_waitcnt lgkmcnt(0)
	scratch_store_b128 v70, v[8:11], off
	s_clause 0x1
	scratch_load_b128 v[4:7], v68, off
	scratch_load_b128 v[8:11], v88, off
	scratch_store_b128 off, v[0:3], off offset:240
	s_waitcnt vmcnt(1)
	ds_swizzle_b32 v0, v4 offset:swizzle(SWAP,8)
	ds_swizzle_b32 v1, v5 offset:swizzle(SWAP,8)
	ds_swizzle_b32 v2, v6 offset:swizzle(SWAP,8)
	ds_swizzle_b32 v3, v7 offset:swizzle(SWAP,8)
	s_waitcnt vmcnt(0)
	ds_swizzle_b32 v4, v8 offset:swizzle(SWAP,4)
	ds_swizzle_b32 v5, v9 offset:swizzle(SWAP,4)
	ds_swizzle_b32 v6, v10 offset:swizzle(SWAP,4)
	ds_swizzle_b32 v7, v11 offset:swizzle(SWAP,4)
	s_waitcnt lgkmcnt(4)
	scratch_store_b128 v68, v[0:3], off
	s_waitcnt lgkmcnt(0)
	scratch_store_b128 v88, v[4:7], off
	s_clause 0x1
	scratch_load_b128 v[0:3], v69, off
	scratch_load_b128 v[4:7], v93, off
	s_waitcnt vmcnt(1)
	ds_swizzle_b32 v0, v0 offset:swizzle(SWAP,8)
	ds_swizzle_b32 v1, v1 offset:swizzle(SWAP,8)
	ds_swizzle_b32 v2, v2 offset:swizzle(SWAP,8)
	ds_swizzle_b32 v3, v3 offset:swizzle(SWAP,8)
	s_waitcnt vmcnt(0)
	ds_swizzle_b32 v4, v4 offset:swizzle(SWAP,4)
	ds_swizzle_b32 v5, v5 offset:swizzle(SWAP,4)
	ds_swizzle_b32 v6, v6 offset:swizzle(SWAP,4)
	ds_swizzle_b32 v7, v7 offset:swizzle(SWAP,4)
	s_waitcnt lgkmcnt(4)
	scratch_store_b128 v69, v[0:3], off
	s_waitcnt lgkmcnt(0)
	scratch_store_b128 v93, v[4:7], off
	s_clause 0x1
	scratch_load_b128 v[0:3], v94, off
	scratch_load_b128 v[4:7], v71, off
	;; [unrolled: 17-line block ×4, first 2 shown]
	s_waitcnt vmcnt(1)
	ds_swizzle_b32 v0, v0 offset:swizzle(SWAP,4)
	ds_swizzle_b32 v1, v1 offset:swizzle(SWAP,4)
	;; [unrolled: 1-line block ×4, first 2 shown]
	s_waitcnt vmcnt(0)
	ds_swizzle_b32 v4, v4 offset:swizzle(SWAP,2)
	ds_swizzle_b32 v5, v5 offset:swizzle(SWAP,2)
	;; [unrolled: 1-line block ×4, first 2 shown]
	s_waitcnt lgkmcnt(4)
	scratch_store_b128 v73, v[0:3], off
	s_clause 0x1
	scratch_load_b128 v[0:3], v74, off
	scratch_load_b128 v[8:11], v95, off
	s_waitcnt vmcnt(1)
	ds_swizzle_b32 v0, v0 offset:swizzle(SWAP,4)
	ds_swizzle_b32 v1, v1 offset:swizzle(SWAP,4)
	ds_swizzle_b32 v2, v2 offset:swizzle(SWAP,4)
	ds_swizzle_b32 v3, v3 offset:swizzle(SWAP,4)
	s_waitcnt vmcnt(0)
	ds_swizzle_b32 v8, v8 offset:swizzle(SWAP,2)
	ds_swizzle_b32 v9, v9 offset:swizzle(SWAP,2)
	ds_swizzle_b32 v10, v10 offset:swizzle(SWAP,2)
	ds_swizzle_b32 v11, v11 offset:swizzle(SWAP,2)
	s_waitcnt lgkmcnt(4)
	scratch_store_b128 v74, v[0:3], off
	s_waitcnt lgkmcnt(0)
	scratch_store_b128 v95, v[8:11], off
	s_clause 0x1
	scratch_load_b128 v[0:3], v76, off
	scratch_load_b128 v[8:11], v77, off
	s_waitcnt vmcnt(1)
	ds_swizzle_b32 v0, v0 offset:swizzle(SWAP,2)
	ds_swizzle_b32 v1, v1 offset:swizzle(SWAP,2)
	ds_swizzle_b32 v2, v2 offset:swizzle(SWAP,2)
	ds_swizzle_b32 v3, v3 offset:swizzle(SWAP,2)
	s_waitcnt vmcnt(0)
	ds_swizzle_b32 v8, v8 offset:swizzle(SWAP,2)
	ds_swizzle_b32 v9, v9 offset:swizzle(SWAP,2)
	ds_swizzle_b32 v10, v10 offset:swizzle(SWAP,2)
	ds_swizzle_b32 v11, v11 offset:swizzle(SWAP,2)
	s_waitcnt lgkmcnt(4)
	scratch_store_b128 v76, v[0:3], off
	;; [unrolled: 17-line block ×3, first 2 shown]
	s_waitcnt lgkmcnt(0)
	scratch_store_b128 v79, v[8:11], off
	scratch_load_b128 v[0:3], v80, off
	scratch_store_b128 v89, v[4:7], off
	s_clause 0x5
	scratch_load_b128 v[4:7], v81, off
	scratch_load_b128 v[8:11], v90, off
	;; [unrolled: 1-line block ×6, first 2 shown]
	s_waitcnt vmcnt(5)
	ds_swizzle_b32 v4, v4 offset:swizzle(SWAP,1)
	ds_swizzle_b32 v0, v0 offset:swizzle(SWAP,2)
	;; [unrolled: 1-line block ×5, first 2 shown]
	s_waitcnt vmcnt(4)
	ds_swizzle_b32 v8, v8 offset:swizzle(SWAP,1)
	ds_swizzle_b32 v9, v9 offset:swizzle(SWAP,1)
	;; [unrolled: 1-line block ×7, first 2 shown]
	s_waitcnt vmcnt(3)
	ds_swizzle_b32 v12, v12 offset:swizzle(SWAP,1)
	ds_swizzle_b32 v13, v13 offset:swizzle(SWAP,1)
	;; [unrolled: 1-line block ×4, first 2 shown]
	s_waitcnt lgkmcnt(11)
	scratch_store_b128 v80, v[0:3], off
	s_clause 0x1
	scratch_load_b128 v[0:3], v85, off
	scratch_load_b128 v[28:31], v86, off
	s_waitcnt lgkmcnt(7)
	scratch_store_b128 v90, v[8:11], off
	s_waitcnt vmcnt(4)
	ds_swizzle_b32 v8, v16 offset:swizzle(SWAP,1)
	ds_swizzle_b32 v9, v17 offset:swizzle(SWAP,1)
	s_waitcnt lgkmcnt(6)
	scratch_store_b128 v81, v[4:7], off
	ds_swizzle_b32 v10, v18 offset:swizzle(SWAP,1)
	ds_swizzle_b32 v11, v19 offset:swizzle(SWAP,1)
	s_waitcnt vmcnt(3)
	ds_swizzle_b32 v16, v20 offset:swizzle(SWAP,1)
	ds_swizzle_b32 v17, v21 offset:swizzle(SWAP,1)
	;; [unrolled: 1-line block ×4, first 2 shown]
	s_waitcnt vmcnt(2)
	ds_swizzle_b32 v4, v24 offset:swizzle(SWAP,1)
	ds_swizzle_b32 v5, v25 offset:swizzle(SWAP,1)
	;; [unrolled: 1-line block ×4, first 2 shown]
	s_waitcnt lgkmcnt(12)
	scratch_store_b128 v96, v[12:15], off
	s_clause 0x3
	scratch_load_b128 v[60:63], off, off
	scratch_load_b128 v[48:51], off, off offset:48
	scratch_load_b128 v[44:47], off, off offset:64
	;; [unrolled: 1-line block ×3, first 2 shown]
	s_waitcnt lgkmcnt(8)
	scratch_store_b128 v82, v[8:11], off
	s_clause 0x1
	scratch_load_b128 v[36:39], off, off offset:96
	scratch_load_b128 v[32:35], off, off offset:112
	s_waitcnt lgkmcnt(4)
	scratch_store_b128 v83, v[16:19], off
	s_waitcnt vmcnt(7)
	ds_swizzle_b32 v0, v0 offset:swizzle(SWAP,1)
	ds_swizzle_b32 v1, v1 offset:swizzle(SWAP,1)
	;; [unrolled: 1-line block ×4, first 2 shown]
	s_waitcnt vmcnt(6)
	ds_swizzle_b32 v97, v28 offset:swizzle(SWAP,1)
	ds_swizzle_b32 v98, v29 offset:swizzle(SWAP,1)
	;; [unrolled: 1-line block ×4, first 2 shown]
	s_clause 0x3
	scratch_load_b128 v[56:59], off, off offset:16
	scratch_load_b128 v[52:55], off, off offset:32
	;; [unrolled: 1-line block ×4, first 2 shown]
	s_waitcnt lgkmcnt(8)
	scratch_store_b128 v84, v[4:7], off
	s_clause 0x1
	scratch_load_b128 v[20:23], off, off offset:160
	scratch_load_b128 v[16:19], off, off offset:176
	s_waitcnt lgkmcnt(4)
	scratch_store_b128 v85, v[0:3], off
	s_waitcnt lgkmcnt(0)
	scratch_store_b128 v86, v[97:100], off
	s_clause 0x3
	scratch_load_b128 v[12:15], off, off offset:192
	scratch_load_b128 v[8:11], off, off offset:208
	;; [unrolled: 1-line block ×4, first 2 shown]
	; wave barrier
	s_cbranch_scc1 .LBB56_2
	s_branch .LBB56_4
.LBB56_3:
	v_dual_mov_b32 v65, 0 :: v_dual_mov_b32 v2, 0
	v_dual_mov_b32 v3, 0 :: v_dual_mov_b32 v62, 0
	;; [unrolled: 1-line block ×3, first 2 shown]
	s_delay_alu instid0(VALU_DEP_2)
	v_dual_mov_b32 v57, v65 :: v_dual_mov_b32 v58, v62
	v_dual_mov_b32 v53, v65 :: v_dual_mov_b32 v54, v62
	;; [unrolled: 1-line block ×14, first 2 shown]
	v_mov_b32_e32 v1, v65
	v_mov_b32_e32 v61, v65
	;; [unrolled: 1-line block ×16, first 2 shown]
.LBB56_4:
	s_load_b64 s[0:1], s[0:1], 0x0
	v_lshl_or_b32 v64, s15, 12, v64
	v_mov_b32_e32 v65, 0
	s_delay_alu instid0(VALU_DEP_1) | instskip(SKIP_1) | instid1(VALU_DEP_1)
	v_lshlrev_b64 v[64:65], 4, v[64:65]
	s_waitcnt lgkmcnt(0)
	v_add_co_u32 v64, vcc_lo, s0, v64
	s_delay_alu instid0(VALU_DEP_2)
	v_add_co_ci_u32_e32 v65, vcc_lo, s1, v65, vcc_lo
	s_waitcnt vmcnt(15)
	global_store_b128 v[64:65], v[60:63], off
	s_waitcnt vmcnt(9)
	global_store_b128 v[64:65], v[56:59], off offset:16
	s_waitcnt vmcnt(8)
	s_clause 0x5
	global_store_b128 v[64:65], v[52:55], off offset:32
	global_store_b128 v[64:65], v[48:51], off offset:48
	;; [unrolled: 1-line block ×6, first 2 shown]
	s_waitcnt vmcnt(7)
	global_store_b128 v[64:65], v[28:31], off offset:128
	s_waitcnt vmcnt(6)
	global_store_b128 v[64:65], v[24:27], off offset:144
	;; [unrolled: 2-line block ×8, first 2 shown]
	s_endpgm
	.section	.rodata,"a",@progbits
	.p2align	6, 0x0
	.amdhsa_kernel _Z20warp_exchange_kernelILj256ELj16ELj16EN6common25StripedToBlockedShuffleOpEnEvPT3_j
		.amdhsa_group_segment_fixed_size 0
		.amdhsa_private_segment_fixed_size 272
		.amdhsa_kernarg_size 12
		.amdhsa_user_sgpr_count 15
		.amdhsa_user_sgpr_dispatch_ptr 0
		.amdhsa_user_sgpr_queue_ptr 0
		.amdhsa_user_sgpr_kernarg_segment_ptr 1
		.amdhsa_user_sgpr_dispatch_id 0
		.amdhsa_user_sgpr_private_segment_size 0
		.amdhsa_wavefront_size32 1
		.amdhsa_uses_dynamic_stack 0
		.amdhsa_enable_private_segment 1
		.amdhsa_system_sgpr_workgroup_id_x 1
		.amdhsa_system_sgpr_workgroup_id_y 0
		.amdhsa_system_sgpr_workgroup_id_z 0
		.amdhsa_system_sgpr_workgroup_info 0
		.amdhsa_system_vgpr_workitem_id 0
		.amdhsa_next_free_vgpr 101
		.amdhsa_next_free_sgpr 16
		.amdhsa_reserve_vcc 1
		.amdhsa_float_round_mode_32 0
		.amdhsa_float_round_mode_16_64 0
		.amdhsa_float_denorm_mode_32 3
		.amdhsa_float_denorm_mode_16_64 3
		.amdhsa_dx10_clamp 1
		.amdhsa_ieee_mode 1
		.amdhsa_fp16_overflow 0
		.amdhsa_workgroup_processor_mode 1
		.amdhsa_memory_ordered 1
		.amdhsa_forward_progress 0
		.amdhsa_shared_vgpr_count 0
		.amdhsa_exception_fp_ieee_invalid_op 0
		.amdhsa_exception_fp_denorm_src 0
		.amdhsa_exception_fp_ieee_div_zero 0
		.amdhsa_exception_fp_ieee_overflow 0
		.amdhsa_exception_fp_ieee_underflow 0
		.amdhsa_exception_fp_ieee_inexact 0
		.amdhsa_exception_int_div_zero 0
	.end_amdhsa_kernel
	.section	.text._Z20warp_exchange_kernelILj256ELj16ELj16EN6common25StripedToBlockedShuffleOpEnEvPT3_j,"axG",@progbits,_Z20warp_exchange_kernelILj256ELj16ELj16EN6common25StripedToBlockedShuffleOpEnEvPT3_j,comdat
.Lfunc_end56:
	.size	_Z20warp_exchange_kernelILj256ELj16ELj16EN6common25StripedToBlockedShuffleOpEnEvPT3_j, .Lfunc_end56-_Z20warp_exchange_kernelILj256ELj16ELj16EN6common25StripedToBlockedShuffleOpEnEvPT3_j
                                        ; -- End function
	.section	.AMDGPU.csdata,"",@progbits
; Kernel info:
; codeLenInByte = 3372
; NumSgprs: 18
; NumVgprs: 101
; ScratchSize: 272
; MemoryBound: 0
; FloatMode: 240
; IeeeMode: 1
; LDSByteSize: 0 bytes/workgroup (compile time only)
; SGPRBlocks: 2
; VGPRBlocks: 12
; NumSGPRsForWavesPerEU: 18
; NumVGPRsForWavesPerEU: 101
; Occupancy: 12
; WaveLimiterHint : 0
; COMPUTE_PGM_RSRC2:SCRATCH_EN: 1
; COMPUTE_PGM_RSRC2:USER_SGPR: 15
; COMPUTE_PGM_RSRC2:TRAP_HANDLER: 0
; COMPUTE_PGM_RSRC2:TGID_X_EN: 1
; COMPUTE_PGM_RSRC2:TGID_Y_EN: 0
; COMPUTE_PGM_RSRC2:TGID_Z_EN: 0
; COMPUTE_PGM_RSRC2:TIDIG_COMP_CNT: 0
	.section	.text._Z20warp_exchange_kernelILj256ELj16ELj32EN6common25StripedToBlockedShuffleOpEnEvPT3_j,"axG",@progbits,_Z20warp_exchange_kernelILj256ELj16ELj32EN6common25StripedToBlockedShuffleOpEnEvPT3_j,comdat
	.protected	_Z20warp_exchange_kernelILj256ELj16ELj32EN6common25StripedToBlockedShuffleOpEnEvPT3_j ; -- Begin function _Z20warp_exchange_kernelILj256ELj16ELj32EN6common25StripedToBlockedShuffleOpEnEvPT3_j
	.globl	_Z20warp_exchange_kernelILj256ELj16ELj32EN6common25StripedToBlockedShuffleOpEnEvPT3_j
	.p2align	8
	.type	_Z20warp_exchange_kernelILj256ELj16ELj32EN6common25StripedToBlockedShuffleOpEnEvPT3_j,@function
_Z20warp_exchange_kernelILj256ELj16ELj32EN6common25StripedToBlockedShuffleOpEnEvPT3_j: ; @_Z20warp_exchange_kernelILj256ELj16ELj32EN6common25StripedToBlockedShuffleOpEnEvPT3_j
; %bb.0:
	s_load_b32 s2, s[0:1], 0x8
	v_lshlrev_b32_e32 v72, 4, v0
	s_delay_alu instid0(VALU_DEP_1)
	v_or_b32_e32 v20, 1, v72
	v_or_b32_e32 v60, 2, v72
	;; [unrolled: 1-line block ×15, first 2 shown]
	s_waitcnt lgkmcnt(0)
	s_cmp_eq_u32 s2, 0
	s_cbranch_scc1 .LBB57_3
; %bb.1:
	v_mbcnt_lo_u32_b32 v6, -1, 0
	v_dual_mov_b32 v1, 0 :: v_dual_mov_b32 v18, 0
	v_dual_mov_b32 v19, 0 :: v_dual_mov_b32 v2, 0
	s_delay_alu instid0(VALU_DEP_3) | instskip(SKIP_1) | instid1(VALU_DEP_4)
	v_dual_mov_b32 v3, 0 :: v_dual_add_nc_u32 v10, 24, v6
	v_add_nc_u32_e32 v7, 28, v6
	v_mov_b32_e32 v5, v1
	v_add_nc_u32_e32 v11, 20, v6
	s_delay_alu instid0(VALU_DEP_4) | instskip(NEXT) | instid1(VALU_DEP_4)
	v_dual_mov_b32 v35, v3 :: v_dual_and_b32 v10, 31, v10
	v_and_b32_e32 v7, 31, v7
	v_mov_b32_e32 v9, v1
	v_mov_b32_e32 v13, v1
	v_dual_mov_b32 v33, v1 :: v_dual_add_nc_u32 v14, 4, v6
	s_delay_alu instid0(VALU_DEP_4) | instskip(SKIP_4) | instid1(VALU_DEP_4)
	v_lshlrev_b32_e32 v74, 2, v7
	v_dual_mov_b32 v34, v2 :: v_dual_add_nc_u32 v7, 12, v6
	v_and_b32_e32 v11, 31, v11
	v_lshlrev_b32_e32 v75, 2, v10
	v_add_nc_u32_e32 v10, 8, v6
	v_and_b32_e32 v7, 31, v7
	v_mov_b32_e32 v31, v3
	v_dual_mov_b32 v47, v3 :: v_dual_mov_b32 v46, v2
	s_delay_alu instid0(VALU_DEP_4) | instskip(NEXT) | instid1(VALU_DEP_4)
	v_dual_mov_b32 v37, v1 :: v_dual_and_b32 v10, 31, v10
	v_dual_mov_b32 v25, v1 :: v_dual_lshlrev_b32 v78, 2, v7
	v_lshrrev_b32_e32 v15, 2, v6
	v_dual_mov_b32 v30, v2 :: v_dual_and_b32 v7, 31, v14
	v_dual_mov_b32 v29, v1 :: v_dual_lshlrev_b32 v76, 2, v11
	v_lshlrev_b32_e32 v11, 2, v6
	v_dual_mov_b32 v27, v3 :: v_dual_mov_b32 v26, v2
	v_mov_b32_e32 v51, v3
	v_mov_b32_e32 v45, v1
	v_dual_mov_b32 v49, v1 :: v_dual_add_nc_u32 v14, 5, v15
	v_xor_b32_e32 v77, 64, v11
	v_lshlrev_b32_e32 v79, 2, v10
	v_add_nc_u32_e32 v10, -1, v15
	v_dual_mov_b32 v50, v2 :: v_dual_add_nc_u32 v11, 6, v15
	v_dual_mov_b32 v53, v1 :: v_dual_lshlrev_b32 v80, 2, v7
	v_xor_b32_e32 v7, 4, v15
	v_mov_b32_e32 v43, v3
	v_dual_mov_b32 v41, v1 :: v_dual_and_b32 v10, 7, v10
	v_dual_mov_b32 v57, v1 :: v_dual_and_b32 v14, 7, v14
	v_lshl_add_u32 v81, v15, 4, 0
	v_dual_mov_b32 v42, v2 :: v_dual_add_nc_u32 v15, 7, v7
	v_and_b32_e32 v11, 7, v11
	v_dual_mov_b32 v59, v3 :: v_dual_mov_b32 v58, v2
	v_mov_b32_e32 v63, v3
	v_mov_b32_e32 v61, v1
	;; [unrolled: 1-line block ×3, first 2 shown]
	v_lshl_add_u32 v82, v10, 4, 0
	v_lshl_add_u32 v83, v11, 4, 0
	v_lshl_add_u32 v84, v14, 4, 0
	v_and_b32_e32 v14, 3, v6
	v_add_nc_u32_e32 v10, 6, v7
	v_dual_mov_b32 v62, v2 :: v_dual_and_b32 v11, 7, v15
	v_dual_mov_b32 v23, v3 :: v_dual_mov_b32 v22, v2
	s_delay_alu instid0(VALU_DEP_3)
	v_dual_mov_b32 v73, v1 :: v_dual_and_b32 v16, 7, v10
	v_lshl_add_u32 v85, v7, 4, 0
	v_lshl_or_b32 v15, v15, 4, 0x80
	v_lshl_add_u32 v86, v11, 4, 0
	v_add_nc_u32_e32 v7, 5, v7
	v_xor_b32_e32 v11, 2, v14
	v_lshl_add_u32 v88, v16, 4, 0
	v_add_nc_u32_e32 v87, 0, v15
	v_add_nc_u32_e32 v6, -1, v6
	v_and_b32_e32 v15, 7, v7
	v_add_nc_u32_e32 v16, 3, v11
	v_lshl_or_b32 v7, v7, 4, 0x80
	v_lshl_or_b32 v10, v10, 4, 0x80
	v_dual_mov_b32 v39, v3 :: v_dual_and_b32 v6, 3, v6
	v_lshl_add_u32 v92, v14, 4, 0x100
	s_delay_alu instid0(VALU_DEP_4)
	v_add_nc_u32_e32 v91, 0, v7
	v_and_b32_e32 v7, 3, v16
	v_add_nc_u32_e32 v89, 0, v10
	v_lshl_add_u32 v93, v6, 4, 0x100
	v_lshl_add_u32 v90, v15, 4, 0
	;; [unrolled: 1-line block ×4, first 2 shown]
	v_dual_mov_b32 v7, v3 :: v_dual_lshlrev_b32 v10, 4, v16
	v_dual_mov_b32 v55, v3 :: v_dual_mov_b32 v16, v72
	v_mov_b32_e32 v6, v2
	v_mov_b32_e32 v38, v2
	s_delay_alu instid0(VALU_DEP_4) | instskip(SKIP_1) | instid1(VALU_DEP_2)
	v_or_b32_e32 v14, 64, v10
	v_dual_mov_b32 v54, v2 :: v_dual_mov_b32 v17, v73
	v_dual_mov_b32 v15, v3 :: v_dual_add_nc_u32 v96, 0x100, v14
	v_or_b32_e32 v10, 0xc0, v10
	s_delay_alu instid0(VALU_DEP_1)
	v_dual_mov_b32 v14, v2 :: v_dual_add_nc_u32 v97, 0x100, v10
	v_dual_mov_b32 v11, v3 :: v_dual_mov_b32 v10, v2
.LBB57_2:                               ; =>This Inner Loop Header: Depth=1
	ds_bpermute_b32 v64, v74, v60
	ds_bpermute_b32 v65, v74, v61
	ds_bpermute_b32 v66, v74, v62
	ds_bpermute_b32 v67, v74, v63
	s_clause 0x1
	scratch_store_b128 off, v[60:63], off offset:32
	scratch_store_b128 off, v[56:59], off offset:48
	ds_bpermute_b32 v56, v74, v56
	ds_bpermute_b32 v57, v74, v57
	ds_bpermute_b32 v58, v74, v58
	ds_bpermute_b32 v59, v74, v59
	ds_bpermute_b32 v60, v75, v40
	ds_bpermute_b32 v61, v75, v41
	ds_bpermute_b32 v62, v75, v42
	ds_bpermute_b32 v63, v75, v43
	s_clause 0x1
	scratch_store_b128 off, v[40:43], off offset:64
	scratch_store_b128 off, v[52:55], off offset:80
	ds_bpermute_b32 v40, v75, v52
	ds_bpermute_b32 v41, v75, v53
	ds_bpermute_b32 v42, v75, v54
	ds_bpermute_b32 v43, v75, v55
	;; [unrolled: 11-line block ×5, first 2 shown]
	ds_bpermute_b32 v32, v79, v12
	ds_bpermute_b32 v33, v79, v13
	;; [unrolled: 1-line block ×4, first 2 shown]
	s_clause 0x3
	scratch_store_b128 off, v[16:19], off
	scratch_store_b128 off, v[20:23], off offset:16
	scratch_store_b128 off, v[12:15], off offset:192
	;; [unrolled: 1-line block ×3, first 2 shown]
	ds_bpermute_b32 v12, v79, v8
	ds_bpermute_b32 v13, v79, v9
	ds_bpermute_b32 v14, v79, v10
	ds_bpermute_b32 v15, v79, v11
	ds_bpermute_b32 v8, v80, v4
	ds_bpermute_b32 v9, v80, v5
	ds_bpermute_b32 v10, v80, v6
	ds_bpermute_b32 v11, v80, v7
	s_clause 0x1
	scratch_store_b128 off, v[4:7], off offset:224
	scratch_store_b128 off, v[0:3], off offset:240
	s_clause 0x1
	scratch_store_b128 v81, v[16:19], off
	scratch_store_b128 v81, v[20:23], off offset:128
	s_waitcnt lgkmcnt(48)
	scratch_store_b128 v82, v[64:67], off
	s_waitcnt lgkmcnt(44)
	scratch_store_b128 v82, v[56:59], off offset:128
	s_waitcnt lgkmcnt(40)
	scratch_store_b128 v83, v[60:63], off
	s_waitcnt lgkmcnt(36)
	;; [unrolled: 4-line block ×5, first 2 shown]
	scratch_store_b128 v87, v[28:31], off
	s_waitcnt lgkmcnt(8)
	scratch_store_b128 v88, v[32:35], off
	s_waitcnt lgkmcnt(4)
	;; [unrolled: 2-line block ×3, first 2 shown]
	scratch_store_b128 v90, v[8:11], off
	ds_bpermute_b32 v4, v80, v0
	ds_bpermute_b32 v5, v80, v1
	;; [unrolled: 1-line block ×4, first 2 shown]
	s_clause 0x6
	scratch_load_b128 v[0:3], off, off offset:64
	scratch_load_b128 v[8:11], off, off offset:80
	;; [unrolled: 1-line block ×7, first 2 shown]
	s_add_i32 s2, s2, -1
	s_delay_alu instid0(SALU_CYCLE_1)
	s_cmp_lg_u32 s2, 0
	s_waitcnt lgkmcnt(0)
	scratch_store_b128 v91, v[4:7], off
	s_clause 0x8
	scratch_load_b128 v[4:7], off, off offset:144
	scratch_load_b128 v[32:35], off, off offset:160
	;; [unrolled: 1-line block ×8, first 2 shown]
	scratch_load_b128 v[60:63], off, off
	s_waitcnt vmcnt(15)
	ds_bpermute_b32 v0, v77, v0
	ds_bpermute_b32 v1, v77, v1
	ds_bpermute_b32 v2, v77, v2
	ds_bpermute_b32 v3, v77, v3
	s_waitcnt vmcnt(14)
	ds_bpermute_b32 v8, v76, v8
	ds_bpermute_b32 v9, v76, v9
	ds_bpermute_b32 v10, v76, v10
	ds_bpermute_b32 v11, v76, v11
	;; [unrolled: 5-line block ×5, first 2 shown]
	ds_bpermute_b32 v24, v79, v24
	ds_bpermute_b32 v25, v79, v25
	;; [unrolled: 1-line block ×3, first 2 shown]
	s_waitcnt lgkmcnt(19)
	scratch_store_b128 off, v[0:3], off offset:64
	scratch_load_b128 v[0:3], off, off offset:64
	ds_bpermute_b32 v27, v79, v27
	ds_bpermute_b32 v20, v80, v20
	s_waitcnt lgkmcnt(17)
	scratch_store_b128 off, v[8:11], off offset:80
	scratch_load_b128 v[8:11], off, off offset:80
	ds_bpermute_b32 v21, v80, v21
	ds_bpermute_b32 v22, v80, v22
	s_waitcnt lgkmcnt(15)
	scratch_store_b128 off, v[12:15], off offset:48
	ds_bpermute_b32 v23, v80, v23
	s_waitcnt vmcnt(10)
	ds_bpermute_b32 v4, v80, v4
	ds_bpermute_b32 v5, v80, v5
	ds_bpermute_b32 v6, v80, v6
	ds_bpermute_b32 v7, v80, v7
	s_waitcnt vmcnt(9)
	ds_bpermute_b32 v32, v79, v32
	ds_bpermute_b32 v33, v79, v33
	ds_bpermute_b32 v34, v79, v34
	ds_bpermute_b32 v35, v79, v35
	s_waitcnt vmcnt(8)
	ds_bpermute_b32 v36, v78, v36
	ds_bpermute_b32 v37, v78, v37
	ds_bpermute_b32 v38, v78, v38
	ds_bpermute_b32 v39, v78, v39
	s_waitcnt vmcnt(7)
	ds_bpermute_b32 v40, v77, v40
	ds_bpermute_b32 v41, v77, v41
	ds_bpermute_b32 v42, v77, v42
	ds_bpermute_b32 v43, v77, v43
	s_waitcnt vmcnt(4)
	ds_bpermute_b32 v68, v74, v52
	ds_bpermute_b32 v69, v74, v53
	ds_bpermute_b32 v70, v74, v54
	ds_bpermute_b32 v71, v74, v55
	ds_bpermute_b32 v64, v75, v48
	ds_bpermute_b32 v65, v75, v49
	ds_bpermute_b32 v66, v75, v50
	ds_bpermute_b32 v67, v75, v51
	ds_bpermute_b32 v44, v76, v44
	ds_bpermute_b32 v45, v76, v45
	ds_bpermute_b32 v46, v76, v46
	ds_bpermute_b32 v47, v76, v47
	s_waitcnt vmcnt(3)
	v_mov_b32_dpp v48, v56 quad_perm:[2,3,0,1] row_mask:0xf bank_mask:0xf
	v_mov_b32_dpp v49, v57 quad_perm:[2,3,0,1] row_mask:0xf bank_mask:0xf
	;; [unrolled: 1-line block ×4, first 2 shown]
	s_waitcnt lgkmcnt(43)
	v_mov_b32_dpp v52, v16 quad_perm:[3,0,1,2] row_mask:0xf bank_mask:0xf
	s_waitcnt lgkmcnt(42)
	v_mov_b32_dpp v53, v17 quad_perm:[3,0,1,2] row_mask:0xf bank_mask:0xf
	;; [unrolled: 2-line block ×4, first 2 shown]
	scratch_store_b128 v92, v[12:15], off offset:192
	s_waitcnt lgkmcnt(32)
	scratch_store_b128 v92, v[24:27], off offset:128
	s_waitcnt vmcnt(2)
	scratch_store_b128 v92, v[60:63], off
	s_waitcnt lgkmcnt(28)
	scratch_store_b128 v92, v[20:23], off offset:64
	v_mov_b32_dpp v12, v28 quad_perm:[3,0,1,2] row_mask:0xf bank_mask:0xf
	v_mov_b32_dpp v13, v29 quad_perm:[3,0,1,2] row_mask:0xf bank_mask:0xf
	;; [unrolled: 1-line block ×4, first 2 shown]
	s_waitcnt lgkmcnt(27)
	v_mov_b32_dpp v56, v4 quad_perm:[2,3,0,1] row_mask:0xf bank_mask:0xf
	s_waitcnt lgkmcnt(26)
	v_mov_b32_dpp v57, v5 quad_perm:[2,3,0,1] row_mask:0xf bank_mask:0xf
	;; [unrolled: 2-line block ×4, first 2 shown]
	s_clause 0x1
	scratch_store_b128 v93, v[52:55], off offset:128
	scratch_store_b128 v93, v[12:15], off offset:192
	s_waitcnt lgkmcnt(23)
	v_mov_b32_dpp v52, v32 quad_perm:[2,3,0,1] row_mask:0xf bank_mask:0xf
	s_waitcnt lgkmcnt(22)
	v_mov_b32_dpp v53, v33 quad_perm:[2,3,0,1] row_mask:0xf bank_mask:0xf
	;; [unrolled: 2-line block ×8, first 2 shown]
	s_waitcnt vmcnt(1)
	v_mov_b32_dpp v0, v0 quad_perm:[3,0,1,2] row_mask:0xf bank_mask:0xf
	v_mov_b32_dpp v1, v1 quad_perm:[3,0,1,2] row_mask:0xf bank_mask:0xf
	;; [unrolled: 1-line block ×4, first 2 shown]
	s_waitcnt vmcnt(0)
	v_mov_b32_dpp v8, v8 quad_perm:[3,0,1,2] row_mask:0xf bank_mask:0xf
	v_mov_b32_dpp v9, v9 quad_perm:[3,0,1,2] row_mask:0xf bank_mask:0xf
	;; [unrolled: 1-line block ×4, first 2 shown]
	scratch_store_b128 v93, v[0:3], off
	s_waitcnt lgkmcnt(15)
	v_mov_b32_dpp v0, v40 quad_perm:[1,2,3,0] row_mask:0xf bank_mask:0xf
	s_waitcnt lgkmcnt(14)
	v_mov_b32_dpp v1, v41 quad_perm:[1,2,3,0] row_mask:0xf bank_mask:0xf
	s_clause 0x1
	scratch_store_b128 v94, v[48:51], off
	scratch_store_b128 v93, v[8:11], off offset:64
	s_waitcnt lgkmcnt(11)
	v_mov_b32_dpp v48, v68 quad_perm:[1,2,3,0] row_mask:0xf bank_mask:0xf
	s_waitcnt lgkmcnt(10)
	v_mov_b32_dpp v49, v69 quad_perm:[1,2,3,0] row_mask:0xf bank_mask:0xf
	v_mov_b32_dpp v2, v42 quad_perm:[1,2,3,0] row_mask:0xf bank_mask:0xf
	v_mov_b32_dpp v3, v43 quad_perm:[1,2,3,0] row_mask:0xf bank_mask:0xf
	s_waitcnt lgkmcnt(9)
	v_mov_b32_dpp v50, v70 quad_perm:[1,2,3,0] row_mask:0xf bank_mask:0xf
	s_waitcnt lgkmcnt(8)
	v_mov_b32_dpp v51, v71 quad_perm:[1,2,3,0] row_mask:0xf bank_mask:0xf
	;; [unrolled: 2-line block ×6, first 2 shown]
	s_clause 0x3
	scratch_store_b128 v94, v[52:55], off offset:128
	scratch_store_b128 v95, v[8:11], off offset:128
	;; [unrolled: 1-line block ×4, first 2 shown]
	s_waitcnt lgkmcnt(3)
	v_mov_b32_dpp v12, v44 quad_perm:[1,2,3,0] row_mask:0xf bank_mask:0xf
	s_waitcnt lgkmcnt(2)
	v_mov_b32_dpp v13, v45 quad_perm:[1,2,3,0] row_mask:0xf bank_mask:0xf
	;; [unrolled: 2-line block ×4, first 2 shown]
	s_clause 0x1
	scratch_store_b128 v97, v[48:51], off
	scratch_store_b128 v95, v[0:3], off
	s_clause 0x1
	scratch_store_b128 off, v[20:23], off offset:16
	scratch_store_b128 off, v[24:27], off offset:32
	s_clause 0x3
	scratch_load_b128 v[20:23], off, off offset:480
	scratch_load_b128 v[60:63], off, off offset:496
	scratch_load_b128 v[98:101], off, off offset:272
	scratch_load_b128 v[102:105], off, off offset:288
	scratch_store_b128 v96, v[12:15], off
	s_clause 0x3
	scratch_load_b128 v[8:11], off, off offset:400
	scratch_load_b128 v[52:55], off, off offset:416
	;; [unrolled: 1-line block ×4, first 2 shown]
	s_clause 0x1
	scratch_store_b128 off, v[16:19], off offset:96
	scratch_store_b128 off, v[28:31], off offset:112
	s_clause 0x1
	scratch_load_b128 v[106:109], off, off offset:304
	scratch_load_b128 v[110:113], off, off offset:336
	s_clause 0x4
	scratch_store_b128 off, v[4:7], off offset:144
	scratch_store_b128 off, v[32:35], off offset:160
	;; [unrolled: 1-line block ×5, first 2 shown]
	s_clause 0x3
	scratch_load_b128 v[24:27], off, off offset:384
	scratch_load_b128 v[16:19], off, off offset:256
	;; [unrolled: 1-line block ×4, first 2 shown]
	s_waitcnt vmcnt(13)
	v_mov_b32_dpp v4, v20 quad_perm:[2,3,0,1] row_mask:0xf bank_mask:0xf
	v_mov_b32_dpp v5, v21 quad_perm:[2,3,0,1] row_mask:0xf bank_mask:0xf
	;; [unrolled: 1-line block ×4, first 2 shown]
	s_waitcnt vmcnt(11)
	v_mov_b32_dpp v20, v98 quad_perm:[1,2,3,0] row_mask:0xf bank_mask:0xf
	v_mov_b32_dpp v21, v99 quad_perm:[1,2,3,0] row_mask:0xf bank_mask:0xf
	;; [unrolled: 1-line block ×4, first 2 shown]
	s_clause 0x1
	scratch_load_b128 v[44:47], off, off offset:352
	scratch_load_b128 v[98:101], off, off offset:368
	s_waitcnt vmcnt(11)
	v_mov_b32_dpp v36, v8 quad_perm:[1,2,3,0] row_mask:0xf bank_mask:0xf
	v_mov_b32_dpp v37, v9 quad_perm:[1,2,3,0] row_mask:0xf bank_mask:0xf
	v_mov_b32_dpp v38, v10 quad_perm:[1,2,3,0] row_mask:0xf bank_mask:0xf
	v_mov_b32_dpp v39, v11 quad_perm:[1,2,3,0] row_mask:0xf bank_mask:0xf
	s_waitcnt vmcnt(10)
	v_mov_b32_dpp v32, v52 quad_perm:[2,3,0,1] row_mask:0xf bank_mask:0xf
	v_mov_b32_dpp v33, v53 quad_perm:[2,3,0,1] row_mask:0xf bank_mask:0xf
	v_mov_b32_dpp v34, v54 quad_perm:[2,3,0,1] row_mask:0xf bank_mask:0xf
	v_mov_b32_dpp v35, v55 quad_perm:[2,3,0,1] row_mask:0xf bank_mask:0xf
	;; [unrolled: 5-line block ×4, first 2 shown]
	v_mov_b32_dpp v0, v60 quad_perm:[3,0,1,2] row_mask:0xf bank_mask:0xf
	v_mov_b32_dpp v1, v61 quad_perm:[3,0,1,2] row_mask:0xf bank_mask:0xf
	;; [unrolled: 1-line block ×8, first 2 shown]
	s_waitcnt vmcnt(7)
	v_mov_b32_dpp v56, v106 quad_perm:[3,0,1,2] row_mask:0xf bank_mask:0xf
	v_mov_b32_dpp v57, v107 quad_perm:[3,0,1,2] row_mask:0xf bank_mask:0xf
	;; [unrolled: 1-line block ×4, first 2 shown]
	s_waitcnt vmcnt(6)
	v_mov_b32_dpp v52, v110 quad_perm:[1,2,3,0] row_mask:0xf bank_mask:0xf
	v_mov_b32_dpp v53, v111 quad_perm:[1,2,3,0] row_mask:0xf bank_mask:0xf
	;; [unrolled: 1-line block ×4, first 2 shown]
	s_clause 0x1
	scratch_store_b128 off, v[64:67], off offset:224
	scratch_store_b128 off, v[68:71], off offset:240
	; wave barrier
	s_waitcnt vmcnt(1)
	v_mov_b32_dpp v48, v44 quad_perm:[2,3,0,1] row_mask:0xf bank_mask:0xf
	v_mov_b32_dpp v49, v45 quad_perm:[2,3,0,1] row_mask:0xf bank_mask:0xf
	;; [unrolled: 1-line block ×4, first 2 shown]
	s_waitcnt vmcnt(0)
	v_mov_b32_dpp v44, v98 quad_perm:[3,0,1,2] row_mask:0xf bank_mask:0xf
	v_mov_b32_dpp v45, v99 quad_perm:[3,0,1,2] row_mask:0xf bank_mask:0xf
	;; [unrolled: 1-line block ×4, first 2 shown]
	s_cbranch_scc1 .LBB57_2
	s_branch .LBB57_4
.LBB57_3:
	v_dual_mov_b32 v73, 0 :: v_dual_mov_b32 v2, 0
	v_dual_mov_b32 v3, 0 :: v_dual_mov_b32 v18, 0
	;; [unrolled: 1-line block ×3, first 2 shown]
	s_delay_alu instid0(VALU_DEP_2) | instskip(SKIP_2) | instid1(VALU_DEP_4)
	v_dual_mov_b32 v13, v73 :: v_dual_mov_b32 v14, v18
	v_dual_mov_b32 v9, v73 :: v_dual_mov_b32 v10, v18
	;; [unrolled: 1-line block ×3, first 2 shown]
	v_mov_b32_e32 v23, v19
	v_mov_b32_e32 v63, v19
	;; [unrolled: 1-line block ×11, first 2 shown]
	v_dual_mov_b32 v21, v73 :: v_dual_mov_b32 v22, v18
	v_dual_mov_b32 v61, v73 :: v_dual_mov_b32 v62, v18
	v_dual_mov_b32 v57, v73 :: v_dual_mov_b32 v58, v18
	v_dual_mov_b32 v41, v73 :: v_dual_mov_b32 v42, v18
	v_dual_mov_b32 v53, v73 :: v_dual_mov_b32 v54, v18
	v_dual_mov_b32 v49, v73 :: v_dual_mov_b32 v50, v18
	v_dual_mov_b32 v45, v73 :: v_dual_mov_b32 v46, v18
	v_dual_mov_b32 v25, v73 :: v_dual_mov_b32 v26, v18
	v_dual_mov_b32 v37, v73 :: v_dual_mov_b32 v38, v18
	v_dual_mov_b32 v33, v73 :: v_dual_mov_b32 v34, v18
	v_dual_mov_b32 v29, v73 :: v_dual_mov_b32 v30, v18
	v_mov_b32_e32 v1, v73
	v_mov_b32_e32 v17, v73
	;; [unrolled: 1-line block ×5, first 2 shown]
.LBB57_4:
	s_load_b64 s[0:1], s[0:1], 0x0
	v_lshl_or_b32 v64, s15, 12, v72
	v_mov_b32_e32 v65, 0
	s_delay_alu instid0(VALU_DEP_1) | instskip(SKIP_1) | instid1(VALU_DEP_1)
	v_lshlrev_b64 v[64:65], 4, v[64:65]
	s_waitcnt lgkmcnt(0)
	v_add_co_u32 v64, vcc_lo, s0, v64
	s_delay_alu instid0(VALU_DEP_2)
	v_add_co_ci_u32_e32 v65, vcc_lo, s1, v65, vcc_lo
	s_clause 0xf
	global_store_b128 v[64:65], v[16:19], off
	global_store_b128 v[64:65], v[20:23], off offset:16
	global_store_b128 v[64:65], v[60:63], off offset:32
	;; [unrolled: 1-line block ×15, first 2 shown]
	s_endpgm
	.section	.rodata,"a",@progbits
	.p2align	6, 0x0
	.amdhsa_kernel _Z20warp_exchange_kernelILj256ELj16ELj32EN6common25StripedToBlockedShuffleOpEnEvPT3_j
		.amdhsa_group_segment_fixed_size 0
		.amdhsa_private_segment_fixed_size 528
		.amdhsa_kernarg_size 12
		.amdhsa_user_sgpr_count 15
		.amdhsa_user_sgpr_dispatch_ptr 0
		.amdhsa_user_sgpr_queue_ptr 0
		.amdhsa_user_sgpr_kernarg_segment_ptr 1
		.amdhsa_user_sgpr_dispatch_id 0
		.amdhsa_user_sgpr_private_segment_size 0
		.amdhsa_wavefront_size32 1
		.amdhsa_uses_dynamic_stack 0
		.amdhsa_enable_private_segment 1
		.amdhsa_system_sgpr_workgroup_id_x 1
		.amdhsa_system_sgpr_workgroup_id_y 0
		.amdhsa_system_sgpr_workgroup_id_z 0
		.amdhsa_system_sgpr_workgroup_info 0
		.amdhsa_system_vgpr_workitem_id 0
		.amdhsa_next_free_vgpr 114
		.amdhsa_next_free_sgpr 16
		.amdhsa_reserve_vcc 1
		.amdhsa_float_round_mode_32 0
		.amdhsa_float_round_mode_16_64 0
		.amdhsa_float_denorm_mode_32 3
		.amdhsa_float_denorm_mode_16_64 3
		.amdhsa_dx10_clamp 1
		.amdhsa_ieee_mode 1
		.amdhsa_fp16_overflow 0
		.amdhsa_workgroup_processor_mode 1
		.amdhsa_memory_ordered 1
		.amdhsa_forward_progress 0
		.amdhsa_shared_vgpr_count 0
		.amdhsa_exception_fp_ieee_invalid_op 0
		.amdhsa_exception_fp_denorm_src 0
		.amdhsa_exception_fp_ieee_div_zero 0
		.amdhsa_exception_fp_ieee_overflow 0
		.amdhsa_exception_fp_ieee_underflow 0
		.amdhsa_exception_fp_ieee_inexact 0
		.amdhsa_exception_int_div_zero 0
	.end_amdhsa_kernel
	.section	.text._Z20warp_exchange_kernelILj256ELj16ELj32EN6common25StripedToBlockedShuffleOpEnEvPT3_j,"axG",@progbits,_Z20warp_exchange_kernelILj256ELj16ELj32EN6common25StripedToBlockedShuffleOpEnEvPT3_j,comdat
.Lfunc_end57:
	.size	_Z20warp_exchange_kernelILj256ELj16ELj32EN6common25StripedToBlockedShuffleOpEnEvPT3_j, .Lfunc_end57-_Z20warp_exchange_kernelILj256ELj16ELj32EN6common25StripedToBlockedShuffleOpEnEvPT3_j
                                        ; -- End function
	.section	.AMDGPU.csdata,"",@progbits
; Kernel info:
; codeLenInByte = 3908
; NumSgprs: 18
; NumVgprs: 114
; ScratchSize: 528
; MemoryBound: 0
; FloatMode: 240
; IeeeMode: 1
; LDSByteSize: 0 bytes/workgroup (compile time only)
; SGPRBlocks: 2
; VGPRBlocks: 14
; NumSGPRsForWavesPerEU: 18
; NumVGPRsForWavesPerEU: 114
; Occupancy: 12
; WaveLimiterHint : 1
; COMPUTE_PGM_RSRC2:SCRATCH_EN: 1
; COMPUTE_PGM_RSRC2:USER_SGPR: 15
; COMPUTE_PGM_RSRC2:TRAP_HANDLER: 0
; COMPUTE_PGM_RSRC2:TGID_X_EN: 1
; COMPUTE_PGM_RSRC2:TGID_Y_EN: 0
; COMPUTE_PGM_RSRC2:TGID_Z_EN: 0
; COMPUTE_PGM_RSRC2:TIDIG_COMP_CNT: 0
	.section	.text._Z20warp_exchange_kernelILj256ELj1ELj16E18ScatterToStripedOpnEvPT3_j,"axG",@progbits,_Z20warp_exchange_kernelILj256ELj1ELj16E18ScatterToStripedOpnEvPT3_j,comdat
	.protected	_Z20warp_exchange_kernelILj256ELj1ELj16E18ScatterToStripedOpnEvPT3_j ; -- Begin function _Z20warp_exchange_kernelILj256ELj1ELj16E18ScatterToStripedOpnEvPT3_j
	.globl	_Z20warp_exchange_kernelILj256ELj1ELj16E18ScatterToStripedOpnEvPT3_j
	.p2align	8
	.type	_Z20warp_exchange_kernelILj256ELj1ELj16E18ScatterToStripedOpnEvPT3_j,@function
_Z20warp_exchange_kernelILj256ELj1ELj16E18ScatterToStripedOpnEvPT3_j: ; @_Z20warp_exchange_kernelILj256ELj1ELj16E18ScatterToStripedOpnEvPT3_j
; %bb.0:
	s_load_b32 s2, s[0:1], 0x8
	v_mov_b32_e32 v1, 0
	s_waitcnt lgkmcnt(0)
	s_cmp_eq_u32 s2, 0
	s_cbranch_scc1 .LBB58_3
; %bb.1:
	v_not_b32_e32 v2, v0
	v_lshlrev_b32_e32 v3, 4, v0
	v_mbcnt_lo_u32_b32 v4, -1, 0
	s_delay_alu instid0(VALU_DEP_3) | instskip(NEXT) | instid1(VALU_DEP_3)
	v_and_b32_e32 v2, 15, v2
	v_and_b32_e32 v6, 0xf00, v3
	s_delay_alu instid0(VALU_DEP_3) | instskip(SKIP_2) | instid1(VALU_DEP_4)
	v_and_b32_e32 v7, 15, v4
	v_mov_b32_e32 v3, 0
	v_mov_b32_e32 v4, 0
	v_lshl_or_b32 v5, v2, 4, v6
	v_mov_b32_e32 v2, v1
	v_mov_b32_e32 v1, v0
	v_lshl_or_b32 v6, v7, 4, v6
.LBB58_2:                               ; =>This Inner Loop Header: Depth=1
	s_waitcnt lgkmcnt(0)
	ds_store_b128 v5, v[1:4]
	; wave barrier
	ds_load_b128 v[1:4], v6
	s_add_i32 s2, s2, -1
	s_delay_alu instid0(SALU_CYCLE_1)
	s_cmp_lg_u32 s2, 0
	; wave barrier
	s_cbranch_scc1 .LBB58_2
	s_branch .LBB58_4
.LBB58_3:
	s_delay_alu instid0(VALU_DEP_1)
	v_dual_mov_b32 v3, 0 :: v_dual_mov_b32 v2, v1
	v_dual_mov_b32 v4, 0 :: v_dual_mov_b32 v1, v0
.LBB58_4:
	s_load_b64 s[0:1], s[0:1], 0x0
	v_lshl_or_b32 v5, s15, 8, v0
	v_mov_b32_e32 v6, 0
	s_delay_alu instid0(VALU_DEP_1) | instskip(SKIP_1) | instid1(VALU_DEP_1)
	v_lshlrev_b64 v[5:6], 4, v[5:6]
	s_waitcnt lgkmcnt(0)
	v_add_co_u32 v5, vcc_lo, s0, v5
	s_delay_alu instid0(VALU_DEP_2)
	v_add_co_ci_u32_e32 v6, vcc_lo, s1, v6, vcc_lo
	global_store_b128 v[5:6], v[1:4], off
	s_nop 0
	s_sendmsg sendmsg(MSG_DEALLOC_VGPRS)
	s_endpgm
	.section	.rodata,"a",@progbits
	.p2align	6, 0x0
	.amdhsa_kernel _Z20warp_exchange_kernelILj256ELj1ELj16E18ScatterToStripedOpnEvPT3_j
		.amdhsa_group_segment_fixed_size 4096
		.amdhsa_private_segment_fixed_size 0
		.amdhsa_kernarg_size 12
		.amdhsa_user_sgpr_count 15
		.amdhsa_user_sgpr_dispatch_ptr 0
		.amdhsa_user_sgpr_queue_ptr 0
		.amdhsa_user_sgpr_kernarg_segment_ptr 1
		.amdhsa_user_sgpr_dispatch_id 0
		.amdhsa_user_sgpr_private_segment_size 0
		.amdhsa_wavefront_size32 1
		.amdhsa_uses_dynamic_stack 0
		.amdhsa_enable_private_segment 0
		.amdhsa_system_sgpr_workgroup_id_x 1
		.amdhsa_system_sgpr_workgroup_id_y 0
		.amdhsa_system_sgpr_workgroup_id_z 0
		.amdhsa_system_sgpr_workgroup_info 0
		.amdhsa_system_vgpr_workitem_id 0
		.amdhsa_next_free_vgpr 8
		.amdhsa_next_free_sgpr 16
		.amdhsa_reserve_vcc 1
		.amdhsa_float_round_mode_32 0
		.amdhsa_float_round_mode_16_64 0
		.amdhsa_float_denorm_mode_32 3
		.amdhsa_float_denorm_mode_16_64 3
		.amdhsa_dx10_clamp 1
		.amdhsa_ieee_mode 1
		.amdhsa_fp16_overflow 0
		.amdhsa_workgroup_processor_mode 1
		.amdhsa_memory_ordered 1
		.amdhsa_forward_progress 0
		.amdhsa_shared_vgpr_count 0
		.amdhsa_exception_fp_ieee_invalid_op 0
		.amdhsa_exception_fp_denorm_src 0
		.amdhsa_exception_fp_ieee_div_zero 0
		.amdhsa_exception_fp_ieee_overflow 0
		.amdhsa_exception_fp_ieee_underflow 0
		.amdhsa_exception_fp_ieee_inexact 0
		.amdhsa_exception_int_div_zero 0
	.end_amdhsa_kernel
	.section	.text._Z20warp_exchange_kernelILj256ELj1ELj16E18ScatterToStripedOpnEvPT3_j,"axG",@progbits,_Z20warp_exchange_kernelILj256ELj1ELj16E18ScatterToStripedOpnEvPT3_j,comdat
.Lfunc_end58:
	.size	_Z20warp_exchange_kernelILj256ELj1ELj16E18ScatterToStripedOpnEvPT3_j, .Lfunc_end58-_Z20warp_exchange_kernelILj256ELj1ELj16E18ScatterToStripedOpnEvPT3_j
                                        ; -- End function
	.section	.AMDGPU.csdata,"",@progbits
; Kernel info:
; codeLenInByte = 228
; NumSgprs: 18
; NumVgprs: 8
; ScratchSize: 0
; MemoryBound: 0
; FloatMode: 240
; IeeeMode: 1
; LDSByteSize: 4096 bytes/workgroup (compile time only)
; SGPRBlocks: 2
; VGPRBlocks: 0
; NumSGPRsForWavesPerEU: 18
; NumVGPRsForWavesPerEU: 8
; Occupancy: 16
; WaveLimiterHint : 0
; COMPUTE_PGM_RSRC2:SCRATCH_EN: 0
; COMPUTE_PGM_RSRC2:USER_SGPR: 15
; COMPUTE_PGM_RSRC2:TRAP_HANDLER: 0
; COMPUTE_PGM_RSRC2:TGID_X_EN: 1
; COMPUTE_PGM_RSRC2:TGID_Y_EN: 0
; COMPUTE_PGM_RSRC2:TGID_Z_EN: 0
; COMPUTE_PGM_RSRC2:TIDIG_COMP_CNT: 0
	.section	.text._Z20warp_exchange_kernelILj256ELj1ELj32E18ScatterToStripedOpnEvPT3_j,"axG",@progbits,_Z20warp_exchange_kernelILj256ELj1ELj32E18ScatterToStripedOpnEvPT3_j,comdat
	.protected	_Z20warp_exchange_kernelILj256ELj1ELj32E18ScatterToStripedOpnEvPT3_j ; -- Begin function _Z20warp_exchange_kernelILj256ELj1ELj32E18ScatterToStripedOpnEvPT3_j
	.globl	_Z20warp_exchange_kernelILj256ELj1ELj32E18ScatterToStripedOpnEvPT3_j
	.p2align	8
	.type	_Z20warp_exchange_kernelILj256ELj1ELj32E18ScatterToStripedOpnEvPT3_j,@function
_Z20warp_exchange_kernelILj256ELj1ELj32E18ScatterToStripedOpnEvPT3_j: ; @_Z20warp_exchange_kernelILj256ELj1ELj32E18ScatterToStripedOpnEvPT3_j
; %bb.0:
	s_load_b32 s2, s[0:1], 0x8
	v_mov_b32_e32 v1, 0
	s_waitcnt lgkmcnt(0)
	s_cmp_eq_u32 s2, 0
	s_cbranch_scc1 .LBB59_3
; %bb.1:
	v_not_b32_e32 v2, v0
	v_lshlrev_b32_e32 v3, 4, v0
	v_mbcnt_lo_u32_b32 v7, -1, 0
	s_delay_alu instid0(VALU_DEP_3) | instskip(NEXT) | instid1(VALU_DEP_3)
	v_and_b32_e32 v2, 31, v2
	v_dual_mov_b32 v3, 0 :: v_dual_and_b32 v6, 0xe00, v3
	v_mov_b32_e32 v4, 0
	s_delay_alu instid0(VALU_DEP_2)
	v_lshl_or_b32 v5, v2, 4, v6
	v_mov_b32_e32 v2, v1
	v_mov_b32_e32 v1, v0
	v_lshl_or_b32 v6, v7, 4, v6
.LBB59_2:                               ; =>This Inner Loop Header: Depth=1
	s_waitcnt lgkmcnt(0)
	ds_store_b128 v5, v[1:4]
	; wave barrier
	ds_load_b128 v[1:4], v6
	s_add_i32 s2, s2, -1
	s_delay_alu instid0(SALU_CYCLE_1)
	s_cmp_lg_u32 s2, 0
	; wave barrier
	s_cbranch_scc1 .LBB59_2
	s_branch .LBB59_4
.LBB59_3:
	s_delay_alu instid0(VALU_DEP_1)
	v_dual_mov_b32 v3, 0 :: v_dual_mov_b32 v2, v1
	v_dual_mov_b32 v4, 0 :: v_dual_mov_b32 v1, v0
.LBB59_4:
	s_load_b64 s[0:1], s[0:1], 0x0
	v_lshl_or_b32 v5, s15, 8, v0
	v_mov_b32_e32 v6, 0
	s_delay_alu instid0(VALU_DEP_1) | instskip(SKIP_1) | instid1(VALU_DEP_1)
	v_lshlrev_b64 v[5:6], 4, v[5:6]
	s_waitcnt lgkmcnt(0)
	v_add_co_u32 v5, vcc_lo, s0, v5
	s_delay_alu instid0(VALU_DEP_2)
	v_add_co_ci_u32_e32 v6, vcc_lo, s1, v6, vcc_lo
	global_store_b128 v[5:6], v[1:4], off
	s_nop 0
	s_sendmsg sendmsg(MSG_DEALLOC_VGPRS)
	s_endpgm
	.section	.rodata,"a",@progbits
	.p2align	6, 0x0
	.amdhsa_kernel _Z20warp_exchange_kernelILj256ELj1ELj32E18ScatterToStripedOpnEvPT3_j
		.amdhsa_group_segment_fixed_size 4096
		.amdhsa_private_segment_fixed_size 0
		.amdhsa_kernarg_size 12
		.amdhsa_user_sgpr_count 15
		.amdhsa_user_sgpr_dispatch_ptr 0
		.amdhsa_user_sgpr_queue_ptr 0
		.amdhsa_user_sgpr_kernarg_segment_ptr 1
		.amdhsa_user_sgpr_dispatch_id 0
		.amdhsa_user_sgpr_private_segment_size 0
		.amdhsa_wavefront_size32 1
		.amdhsa_uses_dynamic_stack 0
		.amdhsa_enable_private_segment 0
		.amdhsa_system_sgpr_workgroup_id_x 1
		.amdhsa_system_sgpr_workgroup_id_y 0
		.amdhsa_system_sgpr_workgroup_id_z 0
		.amdhsa_system_sgpr_workgroup_info 0
		.amdhsa_system_vgpr_workitem_id 0
		.amdhsa_next_free_vgpr 8
		.amdhsa_next_free_sgpr 16
		.amdhsa_reserve_vcc 1
		.amdhsa_float_round_mode_32 0
		.amdhsa_float_round_mode_16_64 0
		.amdhsa_float_denorm_mode_32 3
		.amdhsa_float_denorm_mode_16_64 3
		.amdhsa_dx10_clamp 1
		.amdhsa_ieee_mode 1
		.amdhsa_fp16_overflow 0
		.amdhsa_workgroup_processor_mode 1
		.amdhsa_memory_ordered 1
		.amdhsa_forward_progress 0
		.amdhsa_shared_vgpr_count 0
		.amdhsa_exception_fp_ieee_invalid_op 0
		.amdhsa_exception_fp_denorm_src 0
		.amdhsa_exception_fp_ieee_div_zero 0
		.amdhsa_exception_fp_ieee_overflow 0
		.amdhsa_exception_fp_ieee_underflow 0
		.amdhsa_exception_fp_ieee_inexact 0
		.amdhsa_exception_int_div_zero 0
	.end_amdhsa_kernel
	.section	.text._Z20warp_exchange_kernelILj256ELj1ELj32E18ScatterToStripedOpnEvPT3_j,"axG",@progbits,_Z20warp_exchange_kernelILj256ELj1ELj32E18ScatterToStripedOpnEvPT3_j,comdat
.Lfunc_end59:
	.size	_Z20warp_exchange_kernelILj256ELj1ELj32E18ScatterToStripedOpnEvPT3_j, .Lfunc_end59-_Z20warp_exchange_kernelILj256ELj1ELj32E18ScatterToStripedOpnEvPT3_j
                                        ; -- End function
	.section	.AMDGPU.csdata,"",@progbits
; Kernel info:
; codeLenInByte = 224
; NumSgprs: 18
; NumVgprs: 8
; ScratchSize: 0
; MemoryBound: 0
; FloatMode: 240
; IeeeMode: 1
; LDSByteSize: 4096 bytes/workgroup (compile time only)
; SGPRBlocks: 2
; VGPRBlocks: 0
; NumSGPRsForWavesPerEU: 18
; NumVGPRsForWavesPerEU: 8
; Occupancy: 16
; WaveLimiterHint : 0
; COMPUTE_PGM_RSRC2:SCRATCH_EN: 0
; COMPUTE_PGM_RSRC2:USER_SGPR: 15
; COMPUTE_PGM_RSRC2:TRAP_HANDLER: 0
; COMPUTE_PGM_RSRC2:TGID_X_EN: 1
; COMPUTE_PGM_RSRC2:TGID_Y_EN: 0
; COMPUTE_PGM_RSRC2:TGID_Z_EN: 0
; COMPUTE_PGM_RSRC2:TIDIG_COMP_CNT: 0
	.section	.text._Z20warp_exchange_kernelILj256ELj4ELj16E18ScatterToStripedOpnEvPT3_j,"axG",@progbits,_Z20warp_exchange_kernelILj256ELj4ELj16E18ScatterToStripedOpnEvPT3_j,comdat
	.protected	_Z20warp_exchange_kernelILj256ELj4ELj16E18ScatterToStripedOpnEvPT3_j ; -- Begin function _Z20warp_exchange_kernelILj256ELj4ELj16E18ScatterToStripedOpnEvPT3_j
	.globl	_Z20warp_exchange_kernelILj256ELj4ELj16E18ScatterToStripedOpnEvPT3_j
	.p2align	8
	.type	_Z20warp_exchange_kernelILj256ELj4ELj16E18ScatterToStripedOpnEvPT3_j,@function
_Z20warp_exchange_kernelILj256ELj4ELj16E18ScatterToStripedOpnEvPT3_j: ; @_Z20warp_exchange_kernelILj256ELj4ELj16E18ScatterToStripedOpnEvPT3_j
; %bb.0:
	s_load_b32 s2, s[0:1], 0x8
	v_lshlrev_b32_e32 v17, 2, v0
	s_delay_alu instid0(VALU_DEP_1)
	v_or_b32_e32 v9, 1, v17
	v_or_b32_e32 v5, 2, v17
	;; [unrolled: 1-line block ×3, first 2 shown]
	s_waitcnt lgkmcnt(0)
	s_cmp_eq_u32 s2, 0
	s_cbranch_scc1 .LBB60_3
; %bb.1:
	v_dual_mov_b32 v2, 0 :: v_dual_and_b32 v7, 60, v17
	v_dual_mov_b32 v15, 0 :: v_dual_lshlrev_b32 v0, 6, v0
	v_mbcnt_lo_u32_b32 v8, -1, 0
	v_dual_mov_b32 v16, 0 :: v_dual_mov_b32 v3, 0
	s_delay_alu instid0(VALU_DEP_4)
	v_mov_b32_e32 v18, v2
	v_dual_mov_b32 v4, 0 :: v_dual_mov_b32 v13, v17
	v_and_b32_e32 v12, 0x3c00, v0
	v_and_b32_e32 v8, 15, v8
	v_xor_b32_e32 v11, 60, v7
	v_mov_b32_e32 v6, v2
	v_mov_b32_e32 v10, v2
	v_lshl_or_b32 v19, v7, 4, v12
	v_lshl_or_b32 v20, v8, 4, v12
	v_dual_mov_b32 v8, v4 :: v_dual_mov_b32 v7, v3
	v_lshl_or_b32 v0, v11, 4, v12
	v_dual_mov_b32 v12, v4 :: v_dual_mov_b32 v11, v3
	v_mov_b32_e32 v14, v18
	.p2align	6
.LBB60_2:                               ; =>This Inner Loop Header: Depth=1
	s_waitcnt lgkmcnt(3)
	ds_store_b128 v0, v[13:16]
	s_waitcnt lgkmcnt(3)
	ds_store_b128 v19, v[9:12] offset:16
	s_waitcnt lgkmcnt(3)
	ds_store_b128 v0, v[5:8] offset:32
	;; [unrolled: 2-line block ×3, first 2 shown]
	; wave barrier
	ds_load_b128 v[13:16], v20
	ds_load_b128 v[9:12], v20 offset:256
	ds_load_b128 v[5:8], v20 offset:512
	;; [unrolled: 1-line block ×3, first 2 shown]
	s_add_i32 s2, s2, -1
	s_delay_alu instid0(SALU_CYCLE_1)
	s_cmp_lg_u32 s2, 0
	; wave barrier
	s_cbranch_scc1 .LBB60_2
	s_branch .LBB60_4
.LBB60_3:
	v_dual_mov_b32 v18, 0 :: v_dual_mov_b32 v15, 0
	v_dual_mov_b32 v16, 0 :: v_dual_mov_b32 v3, 0
	;; [unrolled: 1-line block ×3, first 2 shown]
	s_delay_alu instid0(VALU_DEP_3)
	v_dual_mov_b32 v10, v18 :: v_dual_mov_b32 v11, v15
	v_dual_mov_b32 v6, v18 :: v_dual_mov_b32 v7, v15
	v_mov_b32_e32 v2, v18
	v_mov_b32_e32 v14, v18
	;; [unrolled: 1-line block ×4, first 2 shown]
.LBB60_4:
	s_load_b64 s[0:1], s[0:1], 0x0
	v_lshl_or_b32 v17, s15, 10, v17
	v_mov_b32_e32 v18, 0
	s_delay_alu instid0(VALU_DEP_1) | instskip(SKIP_1) | instid1(VALU_DEP_1)
	v_lshlrev_b64 v[17:18], 4, v[17:18]
	s_waitcnt lgkmcnt(0)
	v_add_co_u32 v17, vcc_lo, s0, v17
	s_delay_alu instid0(VALU_DEP_2)
	v_add_co_ci_u32_e32 v18, vcc_lo, s1, v18, vcc_lo
	s_clause 0x3
	global_store_b128 v[17:18], v[13:16], off
	global_store_b128 v[17:18], v[9:12], off offset:16
	global_store_b128 v[17:18], v[5:8], off offset:32
	;; [unrolled: 1-line block ×3, first 2 shown]
	s_nop 0
	s_sendmsg sendmsg(MSG_DEALLOC_VGPRS)
	s_endpgm
	.section	.rodata,"a",@progbits
	.p2align	6, 0x0
	.amdhsa_kernel _Z20warp_exchange_kernelILj256ELj4ELj16E18ScatterToStripedOpnEvPT3_j
		.amdhsa_group_segment_fixed_size 16384
		.amdhsa_private_segment_fixed_size 0
		.amdhsa_kernarg_size 12
		.amdhsa_user_sgpr_count 15
		.amdhsa_user_sgpr_dispatch_ptr 0
		.amdhsa_user_sgpr_queue_ptr 0
		.amdhsa_user_sgpr_kernarg_segment_ptr 1
		.amdhsa_user_sgpr_dispatch_id 0
		.amdhsa_user_sgpr_private_segment_size 0
		.amdhsa_wavefront_size32 1
		.amdhsa_uses_dynamic_stack 0
		.amdhsa_enable_private_segment 0
		.amdhsa_system_sgpr_workgroup_id_x 1
		.amdhsa_system_sgpr_workgroup_id_y 0
		.amdhsa_system_sgpr_workgroup_id_z 0
		.amdhsa_system_sgpr_workgroup_info 0
		.amdhsa_system_vgpr_workitem_id 0
		.amdhsa_next_free_vgpr 21
		.amdhsa_next_free_sgpr 16
		.amdhsa_reserve_vcc 1
		.amdhsa_float_round_mode_32 0
		.amdhsa_float_round_mode_16_64 0
		.amdhsa_float_denorm_mode_32 3
		.amdhsa_float_denorm_mode_16_64 3
		.amdhsa_dx10_clamp 1
		.amdhsa_ieee_mode 1
		.amdhsa_fp16_overflow 0
		.amdhsa_workgroup_processor_mode 1
		.amdhsa_memory_ordered 1
		.amdhsa_forward_progress 0
		.amdhsa_shared_vgpr_count 0
		.amdhsa_exception_fp_ieee_invalid_op 0
		.amdhsa_exception_fp_denorm_src 0
		.amdhsa_exception_fp_ieee_div_zero 0
		.amdhsa_exception_fp_ieee_overflow 0
		.amdhsa_exception_fp_ieee_underflow 0
		.amdhsa_exception_fp_ieee_inexact 0
		.amdhsa_exception_int_div_zero 0
	.end_amdhsa_kernel
	.section	.text._Z20warp_exchange_kernelILj256ELj4ELj16E18ScatterToStripedOpnEvPT3_j,"axG",@progbits,_Z20warp_exchange_kernelILj256ELj4ELj16E18ScatterToStripedOpnEvPT3_j,comdat
.Lfunc_end60:
	.size	_Z20warp_exchange_kernelILj256ELj4ELj16E18ScatterToStripedOpnEvPT3_j, .Lfunc_end60-_Z20warp_exchange_kernelILj256ELj4ELj16E18ScatterToStripedOpnEvPT3_j
                                        ; -- End function
	.section	.AMDGPU.csdata,"",@progbits
; Kernel info:
; codeLenInByte = 416
; NumSgprs: 18
; NumVgprs: 21
; ScratchSize: 0
; MemoryBound: 0
; FloatMode: 240
; IeeeMode: 1
; LDSByteSize: 16384 bytes/workgroup (compile time only)
; SGPRBlocks: 2
; VGPRBlocks: 2
; NumSGPRsForWavesPerEU: 18
; NumVGPRsForWavesPerEU: 21
; Occupancy: 16
; WaveLimiterHint : 0
; COMPUTE_PGM_RSRC2:SCRATCH_EN: 0
; COMPUTE_PGM_RSRC2:USER_SGPR: 15
; COMPUTE_PGM_RSRC2:TRAP_HANDLER: 0
; COMPUTE_PGM_RSRC2:TGID_X_EN: 1
; COMPUTE_PGM_RSRC2:TGID_Y_EN: 0
; COMPUTE_PGM_RSRC2:TGID_Z_EN: 0
; COMPUTE_PGM_RSRC2:TIDIG_COMP_CNT: 0
	.section	.text._Z20warp_exchange_kernelILj256ELj4ELj32E18ScatterToStripedOpnEvPT3_j,"axG",@progbits,_Z20warp_exchange_kernelILj256ELj4ELj32E18ScatterToStripedOpnEvPT3_j,comdat
	.protected	_Z20warp_exchange_kernelILj256ELj4ELj32E18ScatterToStripedOpnEvPT3_j ; -- Begin function _Z20warp_exchange_kernelILj256ELj4ELj32E18ScatterToStripedOpnEvPT3_j
	.globl	_Z20warp_exchange_kernelILj256ELj4ELj32E18ScatterToStripedOpnEvPT3_j
	.p2align	8
	.type	_Z20warp_exchange_kernelILj256ELj4ELj32E18ScatterToStripedOpnEvPT3_j,@function
_Z20warp_exchange_kernelILj256ELj4ELj32E18ScatterToStripedOpnEvPT3_j: ; @_Z20warp_exchange_kernelILj256ELj4ELj32E18ScatterToStripedOpnEvPT3_j
; %bb.0:
	s_load_b32 s2, s[0:1], 0x8
	v_lshlrev_b32_e32 v17, 2, v0
	s_delay_alu instid0(VALU_DEP_1)
	v_or_b32_e32 v9, 1, v17
	v_or_b32_e32 v5, 2, v17
	v_or_b32_e32 v1, 3, v17
	s_waitcnt lgkmcnt(0)
	s_cmp_eq_u32 s2, 0
	s_cbranch_scc1 .LBB61_3
; %bb.1:
	v_dual_mov_b32 v2, 0 :: v_dual_and_b32 v7, 0x7c, v17
	v_dual_mov_b32 v15, 0 :: v_dual_lshlrev_b32 v0, 6, v0
	v_dual_mov_b32 v16, 0 :: v_dual_mov_b32 v3, 0
	s_delay_alu instid0(VALU_DEP_2) | instskip(NEXT) | instid1(VALU_DEP_4)
	v_dual_mov_b32 v4, 0 :: v_dual_and_b32 v11, 0x3800, v0
	v_xor_b32_e32 v8, 0x7c, v7
	v_mbcnt_lo_u32_b32 v12, -1, 0
	v_mov_b32_e32 v18, v2
	v_mov_b32_e32 v13, v17
	v_lshl_or_b32 v19, v7, 4, v11
	v_lshl_or_b32 v0, v8, 4, v11
	;; [unrolled: 1-line block ×3, first 2 shown]
	v_mov_b32_e32 v8, v4
	v_mov_b32_e32 v12, v4
	v_dual_mov_b32 v6, v2 :: v_dual_mov_b32 v7, v3
	v_dual_mov_b32 v10, v2 :: v_dual_mov_b32 v11, v3
	v_mov_b32_e32 v14, v18
	.p2align	6
.LBB61_2:                               ; =>This Inner Loop Header: Depth=1
	s_waitcnt lgkmcnt(3)
	ds_store_b128 v0, v[13:16]
	s_waitcnt lgkmcnt(3)
	ds_store_b128 v19, v[9:12] offset:16
	s_waitcnt lgkmcnt(3)
	ds_store_b128 v0, v[5:8] offset:32
	s_waitcnt lgkmcnt(3)
	ds_store_b128 v19, v[1:4] offset:48
	; wave barrier
	ds_load_b128 v[13:16], v20
	ds_load_b128 v[9:12], v20 offset:512
	ds_load_b128 v[5:8], v20 offset:1024
	;; [unrolled: 1-line block ×3, first 2 shown]
	s_add_i32 s2, s2, -1
	s_delay_alu instid0(SALU_CYCLE_1)
	s_cmp_lg_u32 s2, 0
	; wave barrier
	s_cbranch_scc1 .LBB61_2
	s_branch .LBB61_4
.LBB61_3:
	v_dual_mov_b32 v18, 0 :: v_dual_mov_b32 v15, 0
	v_dual_mov_b32 v16, 0 :: v_dual_mov_b32 v3, 0
	;; [unrolled: 1-line block ×3, first 2 shown]
	s_delay_alu instid0(VALU_DEP_3)
	v_dual_mov_b32 v10, v18 :: v_dual_mov_b32 v11, v15
	v_dual_mov_b32 v6, v18 :: v_dual_mov_b32 v7, v15
	v_mov_b32_e32 v2, v18
	v_mov_b32_e32 v14, v18
	v_mov_b32_e32 v12, v16
	v_mov_b32_e32 v8, v16
.LBB61_4:
	s_load_b64 s[0:1], s[0:1], 0x0
	v_lshl_or_b32 v17, s15, 10, v17
	v_mov_b32_e32 v18, 0
	s_delay_alu instid0(VALU_DEP_1) | instskip(SKIP_1) | instid1(VALU_DEP_1)
	v_lshlrev_b64 v[17:18], 4, v[17:18]
	s_waitcnt lgkmcnt(0)
	v_add_co_u32 v17, vcc_lo, s0, v17
	s_delay_alu instid0(VALU_DEP_2)
	v_add_co_ci_u32_e32 v18, vcc_lo, s1, v18, vcc_lo
	s_clause 0x3
	global_store_b128 v[17:18], v[13:16], off
	global_store_b128 v[17:18], v[9:12], off offset:16
	global_store_b128 v[17:18], v[5:8], off offset:32
	;; [unrolled: 1-line block ×3, first 2 shown]
	s_nop 0
	s_sendmsg sendmsg(MSG_DEALLOC_VGPRS)
	s_endpgm
	.section	.rodata,"a",@progbits
	.p2align	6, 0x0
	.amdhsa_kernel _Z20warp_exchange_kernelILj256ELj4ELj32E18ScatterToStripedOpnEvPT3_j
		.amdhsa_group_segment_fixed_size 16384
		.amdhsa_private_segment_fixed_size 0
		.amdhsa_kernarg_size 12
		.amdhsa_user_sgpr_count 15
		.amdhsa_user_sgpr_dispatch_ptr 0
		.amdhsa_user_sgpr_queue_ptr 0
		.amdhsa_user_sgpr_kernarg_segment_ptr 1
		.amdhsa_user_sgpr_dispatch_id 0
		.amdhsa_user_sgpr_private_segment_size 0
		.amdhsa_wavefront_size32 1
		.amdhsa_uses_dynamic_stack 0
		.amdhsa_enable_private_segment 0
		.amdhsa_system_sgpr_workgroup_id_x 1
		.amdhsa_system_sgpr_workgroup_id_y 0
		.amdhsa_system_sgpr_workgroup_id_z 0
		.amdhsa_system_sgpr_workgroup_info 0
		.amdhsa_system_vgpr_workitem_id 0
		.amdhsa_next_free_vgpr 21
		.amdhsa_next_free_sgpr 16
		.amdhsa_reserve_vcc 1
		.amdhsa_float_round_mode_32 0
		.amdhsa_float_round_mode_16_64 0
		.amdhsa_float_denorm_mode_32 3
		.amdhsa_float_denorm_mode_16_64 3
		.amdhsa_dx10_clamp 1
		.amdhsa_ieee_mode 1
		.amdhsa_fp16_overflow 0
		.amdhsa_workgroup_processor_mode 1
		.amdhsa_memory_ordered 1
		.amdhsa_forward_progress 0
		.amdhsa_shared_vgpr_count 0
		.amdhsa_exception_fp_ieee_invalid_op 0
		.amdhsa_exception_fp_denorm_src 0
		.amdhsa_exception_fp_ieee_div_zero 0
		.amdhsa_exception_fp_ieee_overflow 0
		.amdhsa_exception_fp_ieee_underflow 0
		.amdhsa_exception_fp_ieee_inexact 0
		.amdhsa_exception_int_div_zero 0
	.end_amdhsa_kernel
	.section	.text._Z20warp_exchange_kernelILj256ELj4ELj32E18ScatterToStripedOpnEvPT3_j,"axG",@progbits,_Z20warp_exchange_kernelILj256ELj4ELj32E18ScatterToStripedOpnEvPT3_j,comdat
.Lfunc_end61:
	.size	_Z20warp_exchange_kernelILj256ELj4ELj32E18ScatterToStripedOpnEvPT3_j, .Lfunc_end61-_Z20warp_exchange_kernelILj256ELj4ELj32E18ScatterToStripedOpnEvPT3_j
                                        ; -- End function
	.section	.AMDGPU.csdata,"",@progbits
; Kernel info:
; codeLenInByte = 420
; NumSgprs: 18
; NumVgprs: 21
; ScratchSize: 0
; MemoryBound: 0
; FloatMode: 240
; IeeeMode: 1
; LDSByteSize: 16384 bytes/workgroup (compile time only)
; SGPRBlocks: 2
; VGPRBlocks: 2
; NumSGPRsForWavesPerEU: 18
; NumVGPRsForWavesPerEU: 21
; Occupancy: 16
; WaveLimiterHint : 0
; COMPUTE_PGM_RSRC2:SCRATCH_EN: 0
; COMPUTE_PGM_RSRC2:USER_SGPR: 15
; COMPUTE_PGM_RSRC2:TRAP_HANDLER: 0
; COMPUTE_PGM_RSRC2:TGID_X_EN: 1
; COMPUTE_PGM_RSRC2:TGID_Y_EN: 0
; COMPUTE_PGM_RSRC2:TGID_Z_EN: 0
; COMPUTE_PGM_RSRC2:TIDIG_COMP_CNT: 0
	.section	.text._Z20warp_exchange_kernelILj256ELj16ELj16E18ScatterToStripedOpnEvPT3_j,"axG",@progbits,_Z20warp_exchange_kernelILj256ELj16ELj16E18ScatterToStripedOpnEvPT3_j,comdat
	.protected	_Z20warp_exchange_kernelILj256ELj16ELj16E18ScatterToStripedOpnEvPT3_j ; -- Begin function _Z20warp_exchange_kernelILj256ELj16ELj16E18ScatterToStripedOpnEvPT3_j
	.globl	_Z20warp_exchange_kernelILj256ELj16ELj16E18ScatterToStripedOpnEvPT3_j
	.p2align	8
	.type	_Z20warp_exchange_kernelILj256ELj16ELj16E18ScatterToStripedOpnEvPT3_j,@function
_Z20warp_exchange_kernelILj256ELj16ELj16E18ScatterToStripedOpnEvPT3_j: ; @_Z20warp_exchange_kernelILj256ELj16ELj16E18ScatterToStripedOpnEvPT3_j
; %bb.0:
	s_load_b32 s2, s[0:1], 0x8
	v_lshlrev_b32_e32 v65, 4, v0
	s_delay_alu instid0(VALU_DEP_1)
	v_or_b32_e32 v57, 1, v65
	v_or_b32_e32 v53, 2, v65
	;; [unrolled: 1-line block ×15, first 2 shown]
	s_waitcnt lgkmcnt(0)
	s_cmp_eq_u32 s2, 0
	s_cbranch_scc1 .LBB62_3
; %bb.1:
	v_lshlrev_b32_e32 v0, 8, v0
	v_dual_mov_b32 v2, 0 :: v_dual_mov_b32 v63, 0
	v_dual_mov_b32 v64, 0 :: v_dual_mov_b32 v59, 0
	s_delay_alu instid0(VALU_DEP_3) | instskip(SKIP_1) | instid1(VALU_DEP_3)
	v_dual_mov_b32 v60, 0 :: v_dual_and_b32 v7, 0xf000, v0
	v_mbcnt_lo_u32_b32 v3, -1, 0
	v_dual_mov_b32 v15, v59 :: v_dual_and_b32 v4, 0xf0, v65
	v_mov_b32_e32 v66, v2
	v_dual_mov_b32 v6, v2 :: v_dual_mov_b32 v61, v65
	s_delay_alu instid0(VALU_DEP_4) | instskip(NEXT) | instid1(VALU_DEP_4)
	v_and_b32_e32 v0, 15, v3
	v_xor_b32_e32 v3, 0xf0, v4
	v_dual_mov_b32 v10, v2 :: v_dual_mov_b32 v55, v59
	v_dual_mov_b32 v14, v2 :: v_dual_mov_b32 v51, v59
	;; [unrolled: 1-line block ×10, first 2 shown]
	v_mov_b32_e32 v50, v2
	v_lshl_or_b32 v67, v3, 4, v7
	v_lshl_or_b32 v68, v4, 4, v7
	v_mov_b32_e32 v19, v59
	v_mov_b32_e32 v3, v59
	v_lshl_or_b32 v0, v0, 4, v7
	v_dual_mov_b32 v7, v59 :: v_dual_mov_b32 v54, v2
	v_mov_b32_e32 v58, v2
	v_mov_b32_e32 v62, v66
	;; [unrolled: 1-line block ×16, first 2 shown]
.LBB62_2:                               ; =>This Inner Loop Header: Depth=1
	s_waitcnt lgkmcnt(15)
	ds_store_b128 v67, v[61:64]
	s_waitcnt lgkmcnt(15)
	ds_store_b128 v68, v[57:60] offset:16
	s_waitcnt lgkmcnt(15)
	ds_store_b128 v67, v[53:56] offset:32
	;; [unrolled: 2-line block ×15, first 2 shown]
	; wave barrier
	ds_load_b128 v[61:64], v0
	ds_load_b128 v[57:60], v0 offset:256
	ds_load_b128 v[53:56], v0 offset:512
	;; [unrolled: 1-line block ×15, first 2 shown]
	s_add_i32 s2, s2, -1
	s_delay_alu instid0(SALU_CYCLE_1)
	s_cmp_lg_u32 s2, 0
	; wave barrier
	s_cbranch_scc1 .LBB62_2
	s_branch .LBB62_4
.LBB62_3:
	v_dual_mov_b32 v66, 0 :: v_dual_mov_b32 v3, 0
	v_dual_mov_b32 v4, 0 :: v_dual_mov_b32 v7, 0
	;; [unrolled: 1-line block ×3, first 2 shown]
	s_delay_alu instid0(VALU_DEP_3) | instskip(SKIP_2) | instid1(VALU_DEP_4)
	v_mov_b32_e32 v58, v66
	v_mov_b32_e32 v54, v66
	;; [unrolled: 1-line block ×5, first 2 shown]
	v_dual_mov_b32 v20, v8 :: v_dual_mov_b32 v19, v7
	v_mov_b32_e32 v24, v8
	v_mov_b32_e32 v28, v8
	;; [unrolled: 1-line block ×11, first 2 shown]
	v_dual_mov_b32 v46, v66 :: v_dual_mov_b32 v23, v7
	v_dual_mov_b32 v42, v66 :: v_dual_mov_b32 v27, v7
	;; [unrolled: 1-line block ×13, first 2 shown]
.LBB62_4:
	s_load_b64 s[0:1], s[0:1], 0x0
	v_lshl_or_b32 v65, s15, 12, v65
	v_mov_b32_e32 v66, 0
	s_delay_alu instid0(VALU_DEP_1) | instskip(SKIP_1) | instid1(VALU_DEP_1)
	v_lshlrev_b64 v[65:66], 4, v[65:66]
	s_waitcnt lgkmcnt(0)
	v_add_co_u32 v65, vcc_lo, s0, v65
	s_delay_alu instid0(VALU_DEP_2)
	v_add_co_ci_u32_e32 v66, vcc_lo, s1, v66, vcc_lo
	s_clause 0xf
	global_store_b128 v[65:66], v[61:64], off
	global_store_b128 v[65:66], v[57:60], off offset:16
	global_store_b128 v[65:66], v[53:56], off offset:32
	;; [unrolled: 1-line block ×15, first 2 shown]
	s_nop 0
	s_sendmsg sendmsg(MSG_DEALLOC_VGPRS)
	s_endpgm
	.section	.rodata,"a",@progbits
	.p2align	6, 0x0
	.amdhsa_kernel _Z20warp_exchange_kernelILj256ELj16ELj16E18ScatterToStripedOpnEvPT3_j
		.amdhsa_group_segment_fixed_size 65536
		.amdhsa_private_segment_fixed_size 0
		.amdhsa_kernarg_size 12
		.amdhsa_user_sgpr_count 15
		.amdhsa_user_sgpr_dispatch_ptr 0
		.amdhsa_user_sgpr_queue_ptr 0
		.amdhsa_user_sgpr_kernarg_segment_ptr 1
		.amdhsa_user_sgpr_dispatch_id 0
		.amdhsa_user_sgpr_private_segment_size 0
		.amdhsa_wavefront_size32 1
		.amdhsa_uses_dynamic_stack 0
		.amdhsa_enable_private_segment 0
		.amdhsa_system_sgpr_workgroup_id_x 1
		.amdhsa_system_sgpr_workgroup_id_y 0
		.amdhsa_system_sgpr_workgroup_id_z 0
		.amdhsa_system_sgpr_workgroup_info 0
		.amdhsa_system_vgpr_workitem_id 0
		.amdhsa_next_free_vgpr 69
		.amdhsa_next_free_sgpr 16
		.amdhsa_reserve_vcc 1
		.amdhsa_float_round_mode_32 0
		.amdhsa_float_round_mode_16_64 0
		.amdhsa_float_denorm_mode_32 3
		.amdhsa_float_denorm_mode_16_64 3
		.amdhsa_dx10_clamp 1
		.amdhsa_ieee_mode 1
		.amdhsa_fp16_overflow 0
		.amdhsa_workgroup_processor_mode 1
		.amdhsa_memory_ordered 1
		.amdhsa_forward_progress 0
		.amdhsa_shared_vgpr_count 0
		.amdhsa_exception_fp_ieee_invalid_op 0
		.amdhsa_exception_fp_denorm_src 0
		.amdhsa_exception_fp_ieee_div_zero 0
		.amdhsa_exception_fp_ieee_overflow 0
		.amdhsa_exception_fp_ieee_underflow 0
		.amdhsa_exception_fp_ieee_inexact 0
		.amdhsa_exception_int_div_zero 0
	.end_amdhsa_kernel
	.section	.text._Z20warp_exchange_kernelILj256ELj16ELj16E18ScatterToStripedOpnEvPT3_j,"axG",@progbits,_Z20warp_exchange_kernelILj256ELj16ELj16E18ScatterToStripedOpnEvPT3_j,comdat
.Lfunc_end62:
	.size	_Z20warp_exchange_kernelILj256ELj16ELj16E18ScatterToStripedOpnEvPT3_j, .Lfunc_end62-_Z20warp_exchange_kernelILj256ELj16ELj16E18ScatterToStripedOpnEvPT3_j
                                        ; -- End function
	.section	.AMDGPU.csdata,"",@progbits
; Kernel info:
; codeLenInByte = 1100
; NumSgprs: 18
; NumVgprs: 69
; ScratchSize: 0
; MemoryBound: 1
; FloatMode: 240
; IeeeMode: 1
; LDSByteSize: 65536 bytes/workgroup (compile time only)
; SGPRBlocks: 2
; VGPRBlocks: 8
; NumSGPRsForWavesPerEU: 18
; NumVGPRsForWavesPerEU: 69
; Occupancy: 4
; WaveLimiterHint : 1
; COMPUTE_PGM_RSRC2:SCRATCH_EN: 0
; COMPUTE_PGM_RSRC2:USER_SGPR: 15
; COMPUTE_PGM_RSRC2:TRAP_HANDLER: 0
; COMPUTE_PGM_RSRC2:TGID_X_EN: 1
; COMPUTE_PGM_RSRC2:TGID_Y_EN: 0
; COMPUTE_PGM_RSRC2:TGID_Z_EN: 0
; COMPUTE_PGM_RSRC2:TIDIG_COMP_CNT: 0
	.section	.text._Z20warp_exchange_kernelILj256ELj16ELj32E18ScatterToStripedOpnEvPT3_j,"axG",@progbits,_Z20warp_exchange_kernelILj256ELj16ELj32E18ScatterToStripedOpnEvPT3_j,comdat
	.protected	_Z20warp_exchange_kernelILj256ELj16ELj32E18ScatterToStripedOpnEvPT3_j ; -- Begin function _Z20warp_exchange_kernelILj256ELj16ELj32E18ScatterToStripedOpnEvPT3_j
	.globl	_Z20warp_exchange_kernelILj256ELj16ELj32E18ScatterToStripedOpnEvPT3_j
	.p2align	8
	.type	_Z20warp_exchange_kernelILj256ELj16ELj32E18ScatterToStripedOpnEvPT3_j,@function
_Z20warp_exchange_kernelILj256ELj16ELj32E18ScatterToStripedOpnEvPT3_j: ; @_Z20warp_exchange_kernelILj256ELj16ELj32E18ScatterToStripedOpnEvPT3_j
; %bb.0:
	s_load_b32 s2, s[0:1], 0x8
	v_lshlrev_b32_e32 v65, 4, v0
	s_delay_alu instid0(VALU_DEP_1)
	v_or_b32_e32 v57, 1, v65
	v_or_b32_e32 v53, 2, v65
	;; [unrolled: 1-line block ×15, first 2 shown]
	s_waitcnt lgkmcnt(0)
	s_cmp_eq_u32 s2, 0
	s_cbranch_scc1 .LBB63_3
; %bb.1:
	v_dual_mov_b32 v2, 0 :: v_dual_mov_b32 v63, 0
	v_dual_mov_b32 v64, 0 :: v_dual_mov_b32 v59, 0
	v_dual_mov_b32 v60, 0 :: v_dual_and_b32 v3, 0x1f0, v65
	s_delay_alu instid0(VALU_DEP_2) | instskip(NEXT) | instid1(VALU_DEP_4)
	v_dual_mov_b32 v23, v59 :: v_dual_lshlrev_b32 v0, 8, v0
	v_mov_b32_e32 v66, v2
	v_dual_mov_b32 v6, v2 :: v_dual_mov_b32 v61, v65
	s_delay_alu instid0(VALU_DEP_3)
	v_and_b32_e32 v4, 0xe000, v0
	v_mbcnt_lo_u32_b32 v0, -1, 0
	v_xor_b32_e32 v7, 0x1f0, v3
	v_dual_mov_b32 v10, v2 :: v_dual_mov_b32 v55, v59
	v_dual_mov_b32 v14, v2 :: v_dual_mov_b32 v51, v59
	;; [unrolled: 1-line block ×11, first 2 shown]
	v_mov_b32_e32 v54, v2
	v_lshl_or_b32 v67, v7, 4, v4
	v_mov_b32_e32 v7, v59
	v_lshl_or_b32 v0, v0, 4, v4
	v_lshl_or_b32 v68, v3, 4, v4
	v_dual_mov_b32 v3, v59 :: v_dual_mov_b32 v58, v2
	v_mov_b32_e32 v62, v66
	v_mov_b32_e32 v56, v60
	;; [unrolled: 1-line block ×15, first 2 shown]
.LBB63_2:                               ; =>This Inner Loop Header: Depth=1
	s_waitcnt lgkmcnt(15)
	ds_store_b128 v67, v[61:64]
	s_waitcnt lgkmcnt(15)
	ds_store_b128 v68, v[57:60] offset:16
	s_waitcnt lgkmcnt(15)
	ds_store_b128 v67, v[53:56] offset:32
	;; [unrolled: 2-line block ×15, first 2 shown]
	; wave barrier
	ds_load_b128 v[61:64], v0
	ds_load_b128 v[57:60], v0 offset:512
	ds_load_b128 v[53:56], v0 offset:1024
	;; [unrolled: 1-line block ×15, first 2 shown]
	s_add_i32 s2, s2, -1
	s_delay_alu instid0(SALU_CYCLE_1)
	s_cmp_lg_u32 s2, 0
	; wave barrier
	s_cbranch_scc1 .LBB63_2
	s_branch .LBB63_4
.LBB63_3:
	v_dual_mov_b32 v66, 0 :: v_dual_mov_b32 v3, 0
	v_dual_mov_b32 v4, 0 :: v_dual_mov_b32 v7, 0
	v_dual_mov_b32 v8, 0 :: v_dual_mov_b32 v61, v65
	s_delay_alu instid0(VALU_DEP_3) | instskip(SKIP_2) | instid1(VALU_DEP_4)
	v_mov_b32_e32 v58, v66
	v_mov_b32_e32 v54, v66
	v_mov_b32_e32 v50, v66
	v_mov_b32_e32 v12, v8
	v_mov_b32_e32 v16, v8
	v_dual_mov_b32 v20, v8 :: v_dual_mov_b32 v19, v7
	v_mov_b32_e32 v24, v8
	v_mov_b32_e32 v28, v8
	;; [unrolled: 1-line block ×11, first 2 shown]
	v_dual_mov_b32 v46, v66 :: v_dual_mov_b32 v23, v7
	v_dual_mov_b32 v42, v66 :: v_dual_mov_b32 v27, v7
	v_dual_mov_b32 v38, v66 :: v_dual_mov_b32 v31, v7
	v_dual_mov_b32 v34, v66 :: v_dual_mov_b32 v35, v7
	v_dual_mov_b32 v30, v66 :: v_dual_mov_b32 v39, v7
	v_dual_mov_b32 v26, v66 :: v_dual_mov_b32 v43, v7
	v_dual_mov_b32 v22, v66 :: v_dual_mov_b32 v47, v7
	v_dual_mov_b32 v18, v66 :: v_dual_mov_b32 v51, v7
	v_dual_mov_b32 v14, v66 :: v_dual_mov_b32 v55, v7
	v_dual_mov_b32 v10, v66 :: v_dual_mov_b32 v59, v7
	v_dual_mov_b32 v6, v66 :: v_dual_mov_b32 v63, v7
	v_dual_mov_b32 v2, v66 :: v_dual_mov_b32 v11, v7
	v_dual_mov_b32 v15, v7 :: v_dual_mov_b32 v62, v66
.LBB63_4:
	s_load_b64 s[0:1], s[0:1], 0x0
	v_lshl_or_b32 v65, s15, 12, v65
	v_mov_b32_e32 v66, 0
	s_delay_alu instid0(VALU_DEP_1) | instskip(SKIP_1) | instid1(VALU_DEP_1)
	v_lshlrev_b64 v[65:66], 4, v[65:66]
	s_waitcnt lgkmcnt(0)
	v_add_co_u32 v65, vcc_lo, s0, v65
	s_delay_alu instid0(VALU_DEP_2)
	v_add_co_ci_u32_e32 v66, vcc_lo, s1, v66, vcc_lo
	s_clause 0xf
	global_store_b128 v[65:66], v[61:64], off
	global_store_b128 v[65:66], v[57:60], off offset:16
	global_store_b128 v[65:66], v[53:56], off offset:32
	;; [unrolled: 1-line block ×15, first 2 shown]
	s_nop 0
	s_sendmsg sendmsg(MSG_DEALLOC_VGPRS)
	s_endpgm
	.section	.rodata,"a",@progbits
	.p2align	6, 0x0
	.amdhsa_kernel _Z20warp_exchange_kernelILj256ELj16ELj32E18ScatterToStripedOpnEvPT3_j
		.amdhsa_group_segment_fixed_size 65536
		.amdhsa_private_segment_fixed_size 0
		.amdhsa_kernarg_size 12
		.amdhsa_user_sgpr_count 15
		.amdhsa_user_sgpr_dispatch_ptr 0
		.amdhsa_user_sgpr_queue_ptr 0
		.amdhsa_user_sgpr_kernarg_segment_ptr 1
		.amdhsa_user_sgpr_dispatch_id 0
		.amdhsa_user_sgpr_private_segment_size 0
		.amdhsa_wavefront_size32 1
		.amdhsa_uses_dynamic_stack 0
		.amdhsa_enable_private_segment 0
		.amdhsa_system_sgpr_workgroup_id_x 1
		.amdhsa_system_sgpr_workgroup_id_y 0
		.amdhsa_system_sgpr_workgroup_id_z 0
		.amdhsa_system_sgpr_workgroup_info 0
		.amdhsa_system_vgpr_workitem_id 0
		.amdhsa_next_free_vgpr 69
		.amdhsa_next_free_sgpr 16
		.amdhsa_reserve_vcc 1
		.amdhsa_float_round_mode_32 0
		.amdhsa_float_round_mode_16_64 0
		.amdhsa_float_denorm_mode_32 3
		.amdhsa_float_denorm_mode_16_64 3
		.amdhsa_dx10_clamp 1
		.amdhsa_ieee_mode 1
		.amdhsa_fp16_overflow 0
		.amdhsa_workgroup_processor_mode 1
		.amdhsa_memory_ordered 1
		.amdhsa_forward_progress 0
		.amdhsa_shared_vgpr_count 0
		.amdhsa_exception_fp_ieee_invalid_op 0
		.amdhsa_exception_fp_denorm_src 0
		.amdhsa_exception_fp_ieee_div_zero 0
		.amdhsa_exception_fp_ieee_overflow 0
		.amdhsa_exception_fp_ieee_underflow 0
		.amdhsa_exception_fp_ieee_inexact 0
		.amdhsa_exception_int_div_zero 0
	.end_amdhsa_kernel
	.section	.text._Z20warp_exchange_kernelILj256ELj16ELj32E18ScatterToStripedOpnEvPT3_j,"axG",@progbits,_Z20warp_exchange_kernelILj256ELj16ELj32E18ScatterToStripedOpnEvPT3_j,comdat
.Lfunc_end63:
	.size	_Z20warp_exchange_kernelILj256ELj16ELj32E18ScatterToStripedOpnEvPT3_j, .Lfunc_end63-_Z20warp_exchange_kernelILj256ELj16ELj32E18ScatterToStripedOpnEvPT3_j
                                        ; -- End function
	.section	.AMDGPU.csdata,"",@progbits
; Kernel info:
; codeLenInByte = 1096
; NumSgprs: 18
; NumVgprs: 69
; ScratchSize: 0
; MemoryBound: 1
; FloatMode: 240
; IeeeMode: 1
; LDSByteSize: 65536 bytes/workgroup (compile time only)
; SGPRBlocks: 2
; VGPRBlocks: 8
; NumSGPRsForWavesPerEU: 18
; NumVGPRsForWavesPerEU: 69
; Occupancy: 4
; WaveLimiterHint : 1
; COMPUTE_PGM_RSRC2:SCRATCH_EN: 0
; COMPUTE_PGM_RSRC2:USER_SGPR: 15
; COMPUTE_PGM_RSRC2:TRAP_HANDLER: 0
; COMPUTE_PGM_RSRC2:TGID_X_EN: 1
; COMPUTE_PGM_RSRC2:TGID_Y_EN: 0
; COMPUTE_PGM_RSRC2:TGID_Z_EN: 0
; COMPUTE_PGM_RSRC2:TIDIG_COMP_CNT: 0
	.section	.text._Z20warp_exchange_kernelILj256ELj1ELj16EN6common18BlockedToStripedOpEoEvPT3_j,"axG",@progbits,_Z20warp_exchange_kernelILj256ELj1ELj16EN6common18BlockedToStripedOpEoEvPT3_j,comdat
	.protected	_Z20warp_exchange_kernelILj256ELj1ELj16EN6common18BlockedToStripedOpEoEvPT3_j ; -- Begin function _Z20warp_exchange_kernelILj256ELj1ELj16EN6common18BlockedToStripedOpEoEvPT3_j
	.globl	_Z20warp_exchange_kernelILj256ELj1ELj16EN6common18BlockedToStripedOpEoEvPT3_j
	.p2align	8
	.type	_Z20warp_exchange_kernelILj256ELj1ELj16EN6common18BlockedToStripedOpEoEvPT3_j,@function
_Z20warp_exchange_kernelILj256ELj1ELj16EN6common18BlockedToStripedOpEoEvPT3_j: ; @_Z20warp_exchange_kernelILj256ELj1ELj16EN6common18BlockedToStripedOpEoEvPT3_j
; %bb.0:
	s_load_b32 s2, s[0:1], 0x8
	v_mov_b32_e32 v1, 0
	s_waitcnt lgkmcnt(0)
	s_cmp_eq_u32 s2, 0
	s_cbranch_scc1 .LBB64_3
; %bb.1:
	v_mbcnt_lo_u32_b32 v2, -1, 0
	v_lshlrev_b32_e32 v5, 4, v0
	v_mov_b32_e32 v3, 0
	v_mov_b32_e32 v4, 0
	s_delay_alu instid0(VALU_DEP_4) | instskip(NEXT) | instid1(VALU_DEP_1)
	v_and_b32_e32 v2, 15, v2
	v_lshlrev_b32_e32 v2, 4, v2
	s_delay_alu instid0(VALU_DEP_1)
	v_and_or_b32 v5, 0xf00, v5, v2
	v_mov_b32_e32 v2, v1
	v_mov_b32_e32 v1, v0
.LBB64_2:                               ; =>This Inner Loop Header: Depth=1
	s_waitcnt lgkmcnt(0)
	ds_store_b128 v5, v[1:4]
	; wave barrier
	ds_load_b128 v[1:4], v5
	s_add_i32 s2, s2, -1
	s_delay_alu instid0(SALU_CYCLE_1)
	s_cmp_lg_u32 s2, 0
	; wave barrier
	s_cbranch_scc1 .LBB64_2
	s_branch .LBB64_4
.LBB64_3:
	s_delay_alu instid0(VALU_DEP_1)
	v_dual_mov_b32 v3, 0 :: v_dual_mov_b32 v2, v1
	v_dual_mov_b32 v4, 0 :: v_dual_mov_b32 v1, v0
.LBB64_4:
	s_load_b64 s[0:1], s[0:1], 0x0
	v_lshl_or_b32 v5, s15, 8, v0
	v_mov_b32_e32 v6, 0
	s_delay_alu instid0(VALU_DEP_1) | instskip(SKIP_1) | instid1(VALU_DEP_1)
	v_lshlrev_b64 v[5:6], 4, v[5:6]
	s_waitcnt lgkmcnt(0)
	v_add_co_u32 v5, vcc_lo, s0, v5
	s_delay_alu instid0(VALU_DEP_2)
	v_add_co_ci_u32_e32 v6, vcc_lo, s1, v6, vcc_lo
	global_store_b128 v[5:6], v[1:4], off
	s_nop 0
	s_sendmsg sendmsg(MSG_DEALLOC_VGPRS)
	s_endpgm
	.section	.rodata,"a",@progbits
	.p2align	6, 0x0
	.amdhsa_kernel _Z20warp_exchange_kernelILj256ELj1ELj16EN6common18BlockedToStripedOpEoEvPT3_j
		.amdhsa_group_segment_fixed_size 4096
		.amdhsa_private_segment_fixed_size 0
		.amdhsa_kernarg_size 12
		.amdhsa_user_sgpr_count 15
		.amdhsa_user_sgpr_dispatch_ptr 0
		.amdhsa_user_sgpr_queue_ptr 0
		.amdhsa_user_sgpr_kernarg_segment_ptr 1
		.amdhsa_user_sgpr_dispatch_id 0
		.amdhsa_user_sgpr_private_segment_size 0
		.amdhsa_wavefront_size32 1
		.amdhsa_uses_dynamic_stack 0
		.amdhsa_enable_private_segment 0
		.amdhsa_system_sgpr_workgroup_id_x 1
		.amdhsa_system_sgpr_workgroup_id_y 0
		.amdhsa_system_sgpr_workgroup_id_z 0
		.amdhsa_system_sgpr_workgroup_info 0
		.amdhsa_system_vgpr_workitem_id 0
		.amdhsa_next_free_vgpr 7
		.amdhsa_next_free_sgpr 16
		.amdhsa_reserve_vcc 1
		.amdhsa_float_round_mode_32 0
		.amdhsa_float_round_mode_16_64 0
		.amdhsa_float_denorm_mode_32 3
		.amdhsa_float_denorm_mode_16_64 3
		.amdhsa_dx10_clamp 1
		.amdhsa_ieee_mode 1
		.amdhsa_fp16_overflow 0
		.amdhsa_workgroup_processor_mode 1
		.amdhsa_memory_ordered 1
		.amdhsa_forward_progress 0
		.amdhsa_shared_vgpr_count 0
		.amdhsa_exception_fp_ieee_invalid_op 0
		.amdhsa_exception_fp_denorm_src 0
		.amdhsa_exception_fp_ieee_div_zero 0
		.amdhsa_exception_fp_ieee_overflow 0
		.amdhsa_exception_fp_ieee_underflow 0
		.amdhsa_exception_fp_ieee_inexact 0
		.amdhsa_exception_int_div_zero 0
	.end_amdhsa_kernel
	.section	.text._Z20warp_exchange_kernelILj256ELj1ELj16EN6common18BlockedToStripedOpEoEvPT3_j,"axG",@progbits,_Z20warp_exchange_kernelILj256ELj1ELj16EN6common18BlockedToStripedOpEoEvPT3_j,comdat
.Lfunc_end64:
	.size	_Z20warp_exchange_kernelILj256ELj1ELj16EN6common18BlockedToStripedOpEoEvPT3_j, .Lfunc_end64-_Z20warp_exchange_kernelILj256ELj1ELj16EN6common18BlockedToStripedOpEoEvPT3_j
                                        ; -- End function
	.section	.AMDGPU.csdata,"",@progbits
; Kernel info:
; codeLenInByte = 212
; NumSgprs: 18
; NumVgprs: 7
; ScratchSize: 0
; MemoryBound: 0
; FloatMode: 240
; IeeeMode: 1
; LDSByteSize: 4096 bytes/workgroup (compile time only)
; SGPRBlocks: 2
; VGPRBlocks: 0
; NumSGPRsForWavesPerEU: 18
; NumVGPRsForWavesPerEU: 7
; Occupancy: 16
; WaveLimiterHint : 0
; COMPUTE_PGM_RSRC2:SCRATCH_EN: 0
; COMPUTE_PGM_RSRC2:USER_SGPR: 15
; COMPUTE_PGM_RSRC2:TRAP_HANDLER: 0
; COMPUTE_PGM_RSRC2:TGID_X_EN: 1
; COMPUTE_PGM_RSRC2:TGID_Y_EN: 0
; COMPUTE_PGM_RSRC2:TGID_Z_EN: 0
; COMPUTE_PGM_RSRC2:TIDIG_COMP_CNT: 0
	.section	.text._Z20warp_exchange_kernelILj256ELj1ELj32EN6common18BlockedToStripedOpEoEvPT3_j,"axG",@progbits,_Z20warp_exchange_kernelILj256ELj1ELj32EN6common18BlockedToStripedOpEoEvPT3_j,comdat
	.protected	_Z20warp_exchange_kernelILj256ELj1ELj32EN6common18BlockedToStripedOpEoEvPT3_j ; -- Begin function _Z20warp_exchange_kernelILj256ELj1ELj32EN6common18BlockedToStripedOpEoEvPT3_j
	.globl	_Z20warp_exchange_kernelILj256ELj1ELj32EN6common18BlockedToStripedOpEoEvPT3_j
	.p2align	8
	.type	_Z20warp_exchange_kernelILj256ELj1ELj32EN6common18BlockedToStripedOpEoEvPT3_j,@function
_Z20warp_exchange_kernelILj256ELj1ELj32EN6common18BlockedToStripedOpEoEvPT3_j: ; @_Z20warp_exchange_kernelILj256ELj1ELj32EN6common18BlockedToStripedOpEoEvPT3_j
; %bb.0:
	s_load_b32 s2, s[0:1], 0x8
	v_mov_b32_e32 v1, 0
	s_waitcnt lgkmcnt(0)
	s_cmp_eq_u32 s2, 0
	s_cbranch_scc1 .LBB65_3
; %bb.1:
	v_mbcnt_lo_u32_b32 v2, -1, 0
	v_lshlrev_b32_e32 v5, 4, v0
	v_mov_b32_e32 v3, 0
	v_mov_b32_e32 v4, 0
	s_delay_alu instid0(VALU_DEP_4) | instskip(NEXT) | instid1(VALU_DEP_1)
	v_lshlrev_b32_e32 v2, 4, v2
	v_and_or_b32 v5, 0xe00, v5, v2
	v_mov_b32_e32 v2, v1
	v_mov_b32_e32 v1, v0
.LBB65_2:                               ; =>This Inner Loop Header: Depth=1
	s_waitcnt lgkmcnt(0)
	ds_store_b128 v5, v[1:4]
	; wave barrier
	ds_load_b128 v[1:4], v5
	s_add_i32 s2, s2, -1
	s_delay_alu instid0(SALU_CYCLE_1)
	s_cmp_lg_u32 s2, 0
	; wave barrier
	s_cbranch_scc1 .LBB65_2
	s_branch .LBB65_4
.LBB65_3:
	s_delay_alu instid0(VALU_DEP_1)
	v_dual_mov_b32 v3, 0 :: v_dual_mov_b32 v2, v1
	v_dual_mov_b32 v4, 0 :: v_dual_mov_b32 v1, v0
.LBB65_4:
	s_load_b64 s[0:1], s[0:1], 0x0
	v_lshl_or_b32 v5, s15, 8, v0
	v_mov_b32_e32 v6, 0
	s_delay_alu instid0(VALU_DEP_1) | instskip(SKIP_1) | instid1(VALU_DEP_1)
	v_lshlrev_b64 v[5:6], 4, v[5:6]
	s_waitcnt lgkmcnt(0)
	v_add_co_u32 v5, vcc_lo, s0, v5
	s_delay_alu instid0(VALU_DEP_2)
	v_add_co_ci_u32_e32 v6, vcc_lo, s1, v6, vcc_lo
	global_store_b128 v[5:6], v[1:4], off
	s_nop 0
	s_sendmsg sendmsg(MSG_DEALLOC_VGPRS)
	s_endpgm
	.section	.rodata,"a",@progbits
	.p2align	6, 0x0
	.amdhsa_kernel _Z20warp_exchange_kernelILj256ELj1ELj32EN6common18BlockedToStripedOpEoEvPT3_j
		.amdhsa_group_segment_fixed_size 4096
		.amdhsa_private_segment_fixed_size 0
		.amdhsa_kernarg_size 12
		.amdhsa_user_sgpr_count 15
		.amdhsa_user_sgpr_dispatch_ptr 0
		.amdhsa_user_sgpr_queue_ptr 0
		.amdhsa_user_sgpr_kernarg_segment_ptr 1
		.amdhsa_user_sgpr_dispatch_id 0
		.amdhsa_user_sgpr_private_segment_size 0
		.amdhsa_wavefront_size32 1
		.amdhsa_uses_dynamic_stack 0
		.amdhsa_enable_private_segment 0
		.amdhsa_system_sgpr_workgroup_id_x 1
		.amdhsa_system_sgpr_workgroup_id_y 0
		.amdhsa_system_sgpr_workgroup_id_z 0
		.amdhsa_system_sgpr_workgroup_info 0
		.amdhsa_system_vgpr_workitem_id 0
		.amdhsa_next_free_vgpr 7
		.amdhsa_next_free_sgpr 16
		.amdhsa_reserve_vcc 1
		.amdhsa_float_round_mode_32 0
		.amdhsa_float_round_mode_16_64 0
		.amdhsa_float_denorm_mode_32 3
		.amdhsa_float_denorm_mode_16_64 3
		.amdhsa_dx10_clamp 1
		.amdhsa_ieee_mode 1
		.amdhsa_fp16_overflow 0
		.amdhsa_workgroup_processor_mode 1
		.amdhsa_memory_ordered 1
		.amdhsa_forward_progress 0
		.amdhsa_shared_vgpr_count 0
		.amdhsa_exception_fp_ieee_invalid_op 0
		.amdhsa_exception_fp_denorm_src 0
		.amdhsa_exception_fp_ieee_div_zero 0
		.amdhsa_exception_fp_ieee_overflow 0
		.amdhsa_exception_fp_ieee_underflow 0
		.amdhsa_exception_fp_ieee_inexact 0
		.amdhsa_exception_int_div_zero 0
	.end_amdhsa_kernel
	.section	.text._Z20warp_exchange_kernelILj256ELj1ELj32EN6common18BlockedToStripedOpEoEvPT3_j,"axG",@progbits,_Z20warp_exchange_kernelILj256ELj1ELj32EN6common18BlockedToStripedOpEoEvPT3_j,comdat
.Lfunc_end65:
	.size	_Z20warp_exchange_kernelILj256ELj1ELj32EN6common18BlockedToStripedOpEoEvPT3_j, .Lfunc_end65-_Z20warp_exchange_kernelILj256ELj1ELj32EN6common18BlockedToStripedOpEoEvPT3_j
                                        ; -- End function
	.section	.AMDGPU.csdata,"",@progbits
; Kernel info:
; codeLenInByte = 204
; NumSgprs: 18
; NumVgprs: 7
; ScratchSize: 0
; MemoryBound: 0
; FloatMode: 240
; IeeeMode: 1
; LDSByteSize: 4096 bytes/workgroup (compile time only)
; SGPRBlocks: 2
; VGPRBlocks: 0
; NumSGPRsForWavesPerEU: 18
; NumVGPRsForWavesPerEU: 7
; Occupancy: 16
; WaveLimiterHint : 0
; COMPUTE_PGM_RSRC2:SCRATCH_EN: 0
; COMPUTE_PGM_RSRC2:USER_SGPR: 15
; COMPUTE_PGM_RSRC2:TRAP_HANDLER: 0
; COMPUTE_PGM_RSRC2:TGID_X_EN: 1
; COMPUTE_PGM_RSRC2:TGID_Y_EN: 0
; COMPUTE_PGM_RSRC2:TGID_Z_EN: 0
; COMPUTE_PGM_RSRC2:TIDIG_COMP_CNT: 0
	.section	.text._Z20warp_exchange_kernelILj256ELj4ELj16EN6common18BlockedToStripedOpEoEvPT3_j,"axG",@progbits,_Z20warp_exchange_kernelILj256ELj4ELj16EN6common18BlockedToStripedOpEoEvPT3_j,comdat
	.protected	_Z20warp_exchange_kernelILj256ELj4ELj16EN6common18BlockedToStripedOpEoEvPT3_j ; -- Begin function _Z20warp_exchange_kernelILj256ELj4ELj16EN6common18BlockedToStripedOpEoEvPT3_j
	.globl	_Z20warp_exchange_kernelILj256ELj4ELj16EN6common18BlockedToStripedOpEoEvPT3_j
	.p2align	8
	.type	_Z20warp_exchange_kernelILj256ELj4ELj16EN6common18BlockedToStripedOpEoEvPT3_j,@function
_Z20warp_exchange_kernelILj256ELj4ELj16EN6common18BlockedToStripedOpEoEvPT3_j: ; @_Z20warp_exchange_kernelILj256ELj4ELj16EN6common18BlockedToStripedOpEoEvPT3_j
; %bb.0:
	s_load_b32 s2, s[0:1], 0x8
	v_lshlrev_b32_e32 v17, 2, v0
	s_delay_alu instid0(VALU_DEP_1)
	v_or_b32_e32 v9, 1, v17
	v_or_b32_e32 v5, 2, v17
	;; [unrolled: 1-line block ×3, first 2 shown]
	s_waitcnt lgkmcnt(0)
	s_cmp_eq_u32 s2, 0
	s_cbranch_scc1 .LBB66_3
; %bb.1:
	v_mbcnt_lo_u32_b32 v2, -1, 0
	v_dual_mov_b32 v15, 0 :: v_dual_lshlrev_b32 v0, 6, v0
	v_mov_b32_e32 v3, 0
	s_delay_alu instid0(VALU_DEP_3) | instskip(NEXT) | instid1(VALU_DEP_1)
	v_dual_mov_b32 v2, 0 :: v_dual_and_b32 v7, 15, v2
	v_lshlrev_b32_e32 v8, 6, v7
	v_mul_i32_i24_e32 v13, 0xffffffd0, v7
	s_delay_alu instid0(VALU_DEP_3) | instskip(SKIP_1) | instid1(VALU_DEP_4)
	v_mov_b32_e32 v18, v2
	v_mov_b32_e32 v10, v2
	v_and_or_b32 v0, 0x3c00, v0, v8
	s_delay_alu instid0(VALU_DEP_1) | instskip(NEXT) | instid1(VALU_DEP_1)
	v_dual_mov_b32 v4, 0 :: v_dual_add_nc_u32 v19, v0, v13
	v_mov_b32_e32 v8, v4
	v_dual_mov_b32 v12, v4 :: v_dual_mov_b32 v13, v17
	v_dual_mov_b32 v16, 0 :: v_dual_mov_b32 v7, v3
	;; [unrolled: 1-line block ×3, first 2 shown]
	v_mov_b32_e32 v14, v18
	.p2align	6
.LBB66_2:                               ; =>This Inner Loop Header: Depth=1
	s_waitcnt lgkmcnt(3)
	ds_store_b128 v0, v[13:16]
	s_waitcnt lgkmcnt(3)
	ds_store_b128 v0, v[9:12] offset:16
	s_waitcnt lgkmcnt(3)
	ds_store_b128 v0, v[5:8] offset:32
	;; [unrolled: 2-line block ×3, first 2 shown]
	; wave barrier
	ds_load_b128 v[13:16], v19
	ds_load_b128 v[9:12], v19 offset:256
	ds_load_b128 v[5:8], v19 offset:512
	;; [unrolled: 1-line block ×3, first 2 shown]
	s_add_i32 s2, s2, -1
	s_delay_alu instid0(SALU_CYCLE_1)
	s_cmp_lg_u32 s2, 0
	; wave barrier
	s_cbranch_scc1 .LBB66_2
	s_branch .LBB66_4
.LBB66_3:
	v_dual_mov_b32 v18, 0 :: v_dual_mov_b32 v15, 0
	v_dual_mov_b32 v16, 0 :: v_dual_mov_b32 v3, 0
	;; [unrolled: 1-line block ×3, first 2 shown]
	s_delay_alu instid0(VALU_DEP_3)
	v_dual_mov_b32 v10, v18 :: v_dual_mov_b32 v11, v15
	v_dual_mov_b32 v6, v18 :: v_dual_mov_b32 v7, v15
	v_mov_b32_e32 v2, v18
	v_mov_b32_e32 v14, v18
	;; [unrolled: 1-line block ×4, first 2 shown]
.LBB66_4:
	s_load_b64 s[0:1], s[0:1], 0x0
	v_lshl_or_b32 v17, s15, 10, v17
	v_mov_b32_e32 v18, 0
	s_delay_alu instid0(VALU_DEP_1) | instskip(SKIP_1) | instid1(VALU_DEP_1)
	v_lshlrev_b64 v[17:18], 4, v[17:18]
	s_waitcnt lgkmcnt(0)
	v_add_co_u32 v17, vcc_lo, s0, v17
	s_delay_alu instid0(VALU_DEP_2)
	v_add_co_ci_u32_e32 v18, vcc_lo, s1, v18, vcc_lo
	s_clause 0x3
	global_store_b128 v[17:18], v[13:16], off
	global_store_b128 v[17:18], v[9:12], off offset:16
	global_store_b128 v[17:18], v[5:8], off offset:32
	;; [unrolled: 1-line block ×3, first 2 shown]
	s_nop 0
	s_sendmsg sendmsg(MSG_DEALLOC_VGPRS)
	s_endpgm
	.section	.rodata,"a",@progbits
	.p2align	6, 0x0
	.amdhsa_kernel _Z20warp_exchange_kernelILj256ELj4ELj16EN6common18BlockedToStripedOpEoEvPT3_j
		.amdhsa_group_segment_fixed_size 16384
		.amdhsa_private_segment_fixed_size 0
		.amdhsa_kernarg_size 12
		.amdhsa_user_sgpr_count 15
		.amdhsa_user_sgpr_dispatch_ptr 0
		.amdhsa_user_sgpr_queue_ptr 0
		.amdhsa_user_sgpr_kernarg_segment_ptr 1
		.amdhsa_user_sgpr_dispatch_id 0
		.amdhsa_user_sgpr_private_segment_size 0
		.amdhsa_wavefront_size32 1
		.amdhsa_uses_dynamic_stack 0
		.amdhsa_enable_private_segment 0
		.amdhsa_system_sgpr_workgroup_id_x 1
		.amdhsa_system_sgpr_workgroup_id_y 0
		.amdhsa_system_sgpr_workgroup_id_z 0
		.amdhsa_system_sgpr_workgroup_info 0
		.amdhsa_system_vgpr_workitem_id 0
		.amdhsa_next_free_vgpr 20
		.amdhsa_next_free_sgpr 16
		.amdhsa_reserve_vcc 1
		.amdhsa_float_round_mode_32 0
		.amdhsa_float_round_mode_16_64 0
		.amdhsa_float_denorm_mode_32 3
		.amdhsa_float_denorm_mode_16_64 3
		.amdhsa_dx10_clamp 1
		.amdhsa_ieee_mode 1
		.amdhsa_fp16_overflow 0
		.amdhsa_workgroup_processor_mode 1
		.amdhsa_memory_ordered 1
		.amdhsa_forward_progress 0
		.amdhsa_shared_vgpr_count 0
		.amdhsa_exception_fp_ieee_invalid_op 0
		.amdhsa_exception_fp_denorm_src 0
		.amdhsa_exception_fp_ieee_div_zero 0
		.amdhsa_exception_fp_ieee_overflow 0
		.amdhsa_exception_fp_ieee_underflow 0
		.amdhsa_exception_fp_ieee_inexact 0
		.amdhsa_exception_int_div_zero 0
	.end_amdhsa_kernel
	.section	.text._Z20warp_exchange_kernelILj256ELj4ELj16EN6common18BlockedToStripedOpEoEvPT3_j,"axG",@progbits,_Z20warp_exchange_kernelILj256ELj4ELj16EN6common18BlockedToStripedOpEoEvPT3_j,comdat
.Lfunc_end66:
	.size	_Z20warp_exchange_kernelILj256ELj4ELj16EN6common18BlockedToStripedOpEoEvPT3_j, .Lfunc_end66-_Z20warp_exchange_kernelILj256ELj4ELj16EN6common18BlockedToStripedOpEoEvPT3_j
                                        ; -- End function
	.section	.AMDGPU.csdata,"",@progbits
; Kernel info:
; codeLenInByte = 412
; NumSgprs: 18
; NumVgprs: 20
; ScratchSize: 0
; MemoryBound: 0
; FloatMode: 240
; IeeeMode: 1
; LDSByteSize: 16384 bytes/workgroup (compile time only)
; SGPRBlocks: 2
; VGPRBlocks: 2
; NumSGPRsForWavesPerEU: 18
; NumVGPRsForWavesPerEU: 20
; Occupancy: 16
; WaveLimiterHint : 0
; COMPUTE_PGM_RSRC2:SCRATCH_EN: 0
; COMPUTE_PGM_RSRC2:USER_SGPR: 15
; COMPUTE_PGM_RSRC2:TRAP_HANDLER: 0
; COMPUTE_PGM_RSRC2:TGID_X_EN: 1
; COMPUTE_PGM_RSRC2:TGID_Y_EN: 0
; COMPUTE_PGM_RSRC2:TGID_Z_EN: 0
; COMPUTE_PGM_RSRC2:TIDIG_COMP_CNT: 0
	.section	.text._Z20warp_exchange_kernelILj256ELj4ELj32EN6common18BlockedToStripedOpEoEvPT3_j,"axG",@progbits,_Z20warp_exchange_kernelILj256ELj4ELj32EN6common18BlockedToStripedOpEoEvPT3_j,comdat
	.protected	_Z20warp_exchange_kernelILj256ELj4ELj32EN6common18BlockedToStripedOpEoEvPT3_j ; -- Begin function _Z20warp_exchange_kernelILj256ELj4ELj32EN6common18BlockedToStripedOpEoEvPT3_j
	.globl	_Z20warp_exchange_kernelILj256ELj4ELj32EN6common18BlockedToStripedOpEoEvPT3_j
	.p2align	8
	.type	_Z20warp_exchange_kernelILj256ELj4ELj32EN6common18BlockedToStripedOpEoEvPT3_j,@function
_Z20warp_exchange_kernelILj256ELj4ELj32EN6common18BlockedToStripedOpEoEvPT3_j: ; @_Z20warp_exchange_kernelILj256ELj4ELj32EN6common18BlockedToStripedOpEoEvPT3_j
; %bb.0:
	s_load_b32 s2, s[0:1], 0x8
	v_lshlrev_b32_e32 v17, 2, v0
	s_delay_alu instid0(VALU_DEP_1)
	v_or_b32_e32 v9, 1, v17
	v_or_b32_e32 v5, 2, v17
	;; [unrolled: 1-line block ×3, first 2 shown]
	s_waitcnt lgkmcnt(0)
	s_cmp_eq_u32 s2, 0
	s_cbranch_scc1 .LBB67_3
; %bb.1:
	v_dual_mov_b32 v2, 0 :: v_dual_mov_b32 v3, 0
	v_dual_mov_b32 v15, 0 :: v_dual_lshlrev_b32 v0, 6, v0
	v_mbcnt_lo_u32_b32 v7, -1, 0
	s_delay_alu instid0(VALU_DEP_3) | instskip(SKIP_1) | instid1(VALU_DEP_4)
	v_mov_b32_e32 v18, v2
	v_dual_mov_b32 v4, 0 :: v_dual_mov_b32 v13, v17
	v_and_b32_e32 v8, 0x3800, v0
	v_mov_b32_e32 v16, 0
	v_mov_b32_e32 v6, v2
	s_delay_alu instid0(VALU_DEP_4) | instskip(NEXT) | instid1(VALU_DEP_4)
	v_dual_mov_b32 v12, v4 :: v_dual_mov_b32 v11, v3
	v_lshl_or_b32 v0, v7, 6, v8
	v_lshl_or_b32 v19, v7, 4, v8
	v_dual_mov_b32 v8, v4 :: v_dual_mov_b32 v7, v3
	v_mov_b32_e32 v10, v2
	v_mov_b32_e32 v14, v18
	.p2align	6
.LBB67_2:                               ; =>This Inner Loop Header: Depth=1
	s_waitcnt lgkmcnt(3)
	ds_store_b128 v0, v[13:16]
	s_waitcnt lgkmcnt(3)
	ds_store_b128 v0, v[9:12] offset:16
	s_waitcnt lgkmcnt(3)
	ds_store_b128 v0, v[5:8] offset:32
	;; [unrolled: 2-line block ×3, first 2 shown]
	; wave barrier
	ds_load_b128 v[13:16], v19
	ds_load_b128 v[9:12], v19 offset:512
	ds_load_b128 v[5:8], v19 offset:1024
	;; [unrolled: 1-line block ×3, first 2 shown]
	s_add_i32 s2, s2, -1
	s_delay_alu instid0(SALU_CYCLE_1)
	s_cmp_lg_u32 s2, 0
	; wave barrier
	s_cbranch_scc1 .LBB67_2
	s_branch .LBB67_4
.LBB67_3:
	v_dual_mov_b32 v18, 0 :: v_dual_mov_b32 v15, 0
	v_dual_mov_b32 v16, 0 :: v_dual_mov_b32 v3, 0
	;; [unrolled: 1-line block ×3, first 2 shown]
	s_delay_alu instid0(VALU_DEP_3)
	v_dual_mov_b32 v10, v18 :: v_dual_mov_b32 v11, v15
	v_dual_mov_b32 v6, v18 :: v_dual_mov_b32 v7, v15
	v_mov_b32_e32 v2, v18
	v_mov_b32_e32 v14, v18
	;; [unrolled: 1-line block ×4, first 2 shown]
.LBB67_4:
	s_load_b64 s[0:1], s[0:1], 0x0
	v_lshl_or_b32 v17, s15, 10, v17
	v_mov_b32_e32 v18, 0
	s_delay_alu instid0(VALU_DEP_1) | instskip(SKIP_1) | instid1(VALU_DEP_1)
	v_lshlrev_b64 v[17:18], 4, v[17:18]
	s_waitcnt lgkmcnt(0)
	v_add_co_u32 v17, vcc_lo, s0, v17
	s_delay_alu instid0(VALU_DEP_2)
	v_add_co_ci_u32_e32 v18, vcc_lo, s1, v18, vcc_lo
	s_clause 0x3
	global_store_b128 v[17:18], v[13:16], off
	global_store_b128 v[17:18], v[9:12], off offset:16
	global_store_b128 v[17:18], v[5:8], off offset:32
	global_store_b128 v[17:18], v[1:4], off offset:48
	s_nop 0
	s_sendmsg sendmsg(MSG_DEALLOC_VGPRS)
	s_endpgm
	.section	.rodata,"a",@progbits
	.p2align	6, 0x0
	.amdhsa_kernel _Z20warp_exchange_kernelILj256ELj4ELj32EN6common18BlockedToStripedOpEoEvPT3_j
		.amdhsa_group_segment_fixed_size 16384
		.amdhsa_private_segment_fixed_size 0
		.amdhsa_kernarg_size 12
		.amdhsa_user_sgpr_count 15
		.amdhsa_user_sgpr_dispatch_ptr 0
		.amdhsa_user_sgpr_queue_ptr 0
		.amdhsa_user_sgpr_kernarg_segment_ptr 1
		.amdhsa_user_sgpr_dispatch_id 0
		.amdhsa_user_sgpr_private_segment_size 0
		.amdhsa_wavefront_size32 1
		.amdhsa_uses_dynamic_stack 0
		.amdhsa_enable_private_segment 0
		.amdhsa_system_sgpr_workgroup_id_x 1
		.amdhsa_system_sgpr_workgroup_id_y 0
		.amdhsa_system_sgpr_workgroup_id_z 0
		.amdhsa_system_sgpr_workgroup_info 0
		.amdhsa_system_vgpr_workitem_id 0
		.amdhsa_next_free_vgpr 20
		.amdhsa_next_free_sgpr 16
		.amdhsa_reserve_vcc 1
		.amdhsa_float_round_mode_32 0
		.amdhsa_float_round_mode_16_64 0
		.amdhsa_float_denorm_mode_32 3
		.amdhsa_float_denorm_mode_16_64 3
		.amdhsa_dx10_clamp 1
		.amdhsa_ieee_mode 1
		.amdhsa_fp16_overflow 0
		.amdhsa_workgroup_processor_mode 1
		.amdhsa_memory_ordered 1
		.amdhsa_forward_progress 0
		.amdhsa_shared_vgpr_count 0
		.amdhsa_exception_fp_ieee_invalid_op 0
		.amdhsa_exception_fp_denorm_src 0
		.amdhsa_exception_fp_ieee_div_zero 0
		.amdhsa_exception_fp_ieee_overflow 0
		.amdhsa_exception_fp_ieee_underflow 0
		.amdhsa_exception_fp_ieee_inexact 0
		.amdhsa_exception_int_div_zero 0
	.end_amdhsa_kernel
	.section	.text._Z20warp_exchange_kernelILj256ELj4ELj32EN6common18BlockedToStripedOpEoEvPT3_j,"axG",@progbits,_Z20warp_exchange_kernelILj256ELj4ELj32EN6common18BlockedToStripedOpEoEvPT3_j,comdat
.Lfunc_end67:
	.size	_Z20warp_exchange_kernelILj256ELj4ELj32EN6common18BlockedToStripedOpEoEvPT3_j, .Lfunc_end67-_Z20warp_exchange_kernelILj256ELj4ELj32EN6common18BlockedToStripedOpEoEvPT3_j
                                        ; -- End function
	.section	.AMDGPU.csdata,"",@progbits
; Kernel info:
; codeLenInByte = 400
; NumSgprs: 18
; NumVgprs: 20
; ScratchSize: 0
; MemoryBound: 0
; FloatMode: 240
; IeeeMode: 1
; LDSByteSize: 16384 bytes/workgroup (compile time only)
; SGPRBlocks: 2
; VGPRBlocks: 2
; NumSGPRsForWavesPerEU: 18
; NumVGPRsForWavesPerEU: 20
; Occupancy: 16
; WaveLimiterHint : 0
; COMPUTE_PGM_RSRC2:SCRATCH_EN: 0
; COMPUTE_PGM_RSRC2:USER_SGPR: 15
; COMPUTE_PGM_RSRC2:TRAP_HANDLER: 0
; COMPUTE_PGM_RSRC2:TGID_X_EN: 1
; COMPUTE_PGM_RSRC2:TGID_Y_EN: 0
; COMPUTE_PGM_RSRC2:TGID_Z_EN: 0
; COMPUTE_PGM_RSRC2:TIDIG_COMP_CNT: 0
	.section	.text._Z20warp_exchange_kernelILj256ELj16ELj16EN6common18BlockedToStripedOpEoEvPT3_j,"axG",@progbits,_Z20warp_exchange_kernelILj256ELj16ELj16EN6common18BlockedToStripedOpEoEvPT3_j,comdat
	.protected	_Z20warp_exchange_kernelILj256ELj16ELj16EN6common18BlockedToStripedOpEoEvPT3_j ; -- Begin function _Z20warp_exchange_kernelILj256ELj16ELj16EN6common18BlockedToStripedOpEoEvPT3_j
	.globl	_Z20warp_exchange_kernelILj256ELj16ELj16EN6common18BlockedToStripedOpEoEvPT3_j
	.p2align	8
	.type	_Z20warp_exchange_kernelILj256ELj16ELj16EN6common18BlockedToStripedOpEoEvPT3_j,@function
_Z20warp_exchange_kernelILj256ELj16ELj16EN6common18BlockedToStripedOpEoEvPT3_j: ; @_Z20warp_exchange_kernelILj256ELj16ELj16EN6common18BlockedToStripedOpEoEvPT3_j
; %bb.0:
	s_load_b32 s2, s[0:1], 0x8
	v_lshlrev_b32_e32 v65, 4, v0
	s_delay_alu instid0(VALU_DEP_1)
	v_or_b32_e32 v57, 1, v65
	v_or_b32_e32 v53, 2, v65
	v_or_b32_e32 v49, 3, v65
	v_or_b32_e32 v45, 4, v65
	v_or_b32_e32 v41, 5, v65
	v_or_b32_e32 v37, 6, v65
	v_or_b32_e32 v33, 7, v65
	v_or_b32_e32 v29, 8, v65
	v_or_b32_e32 v25, 9, v65
	v_or_b32_e32 v21, 10, v65
	v_or_b32_e32 v17, 11, v65
	v_or_b32_e32 v13, 12, v65
	v_or_b32_e32 v9, 13, v65
	v_or_b32_e32 v5, 14, v65
	v_or_b32_e32 v1, 15, v65
	s_waitcnt lgkmcnt(0)
	s_cmp_eq_u32 s2, 0
	s_cbranch_scc1 .LBB68_3
; %bb.1:
	v_mbcnt_lo_u32_b32 v7, -1, 0
	v_dual_mov_b32 v2, 0 :: v_dual_mov_b32 v63, 0
	v_dual_mov_b32 v64, 0 :: v_dual_mov_b32 v3, 0
	s_delay_alu instid0(VALU_DEP_3) | instskip(SKIP_1) | instid1(VALU_DEP_4)
	v_dual_mov_b32 v4, 0 :: v_dual_and_b32 v7, 15, v7
	v_lshlrev_b32_e32 v0, 8, v0
	v_mov_b32_e32 v66, v2
	v_dual_mov_b32 v58, v2 :: v_dual_mov_b32 v61, v65
	s_delay_alu instid0(VALU_DEP_4)
	v_lshlrev_b32_e32 v8, 8, v7
	v_mov_b32_e32 v32, v4
	v_dual_mov_b32 v36, v4 :: v_dual_mov_b32 v35, v3
	v_mul_i32_i24_e32 v7, 0xffffff10, v7
	v_mov_b32_e32 v31, v3
	v_and_or_b32 v0, 0xf000, v0, v8
	v_mov_b32_e32 v6, v2
	v_mov_b32_e32 v12, v4
	;; [unrolled: 1-line block ×4, first 2 shown]
	v_add_nc_u32_e32 v67, v0, v7
	v_mov_b32_e32 v8, v4
	v_mov_b32_e32 v24, v4
	;; [unrolled: 1-line block ×9, first 2 shown]
	v_dual_mov_b32 v10, v2 :: v_dual_mov_b32 v7, v3
	v_dual_mov_b32 v14, v2 :: v_dual_mov_b32 v11, v3
	;; [unrolled: 1-line block ×12, first 2 shown]
	v_mov_b32_e32 v62, v66
.LBB68_2:                               ; =>This Inner Loop Header: Depth=1
	s_waitcnt lgkmcnt(15)
	ds_store_b128 v0, v[61:64]
	s_waitcnt lgkmcnt(15)
	ds_store_b128 v0, v[57:60] offset:16
	s_waitcnt lgkmcnt(15)
	ds_store_b128 v0, v[53:56] offset:32
	;; [unrolled: 2-line block ×15, first 2 shown]
	; wave barrier
	ds_load_b128 v[61:64], v67
	ds_load_b128 v[57:60], v67 offset:256
	ds_load_b128 v[53:56], v67 offset:512
	;; [unrolled: 1-line block ×15, first 2 shown]
	s_add_i32 s2, s2, -1
	s_delay_alu instid0(SALU_CYCLE_1)
	s_cmp_lg_u32 s2, 0
	; wave barrier
	s_cbranch_scc1 .LBB68_2
	s_branch .LBB68_4
.LBB68_3:
	v_dual_mov_b32 v66, 0 :: v_dual_mov_b32 v3, 0
	v_dual_mov_b32 v4, 0 :: v_dual_mov_b32 v63, 0
	;; [unrolled: 1-line block ×3, first 2 shown]
	s_delay_alu instid0(VALU_DEP_2)
	v_dual_mov_b32 v58, v66 :: v_dual_mov_b32 v59, v63
	v_dual_mov_b32 v54, v66 :: v_dual_mov_b32 v55, v63
	;; [unrolled: 1-line block ×14, first 2 shown]
	v_mov_b32_e32 v2, v66
	v_mov_b32_e32 v62, v66
	;; [unrolled: 1-line block ×16, first 2 shown]
.LBB68_4:
	s_load_b64 s[0:1], s[0:1], 0x0
	v_lshl_or_b32 v65, s15, 12, v65
	v_mov_b32_e32 v66, 0
	s_delay_alu instid0(VALU_DEP_1) | instskip(SKIP_1) | instid1(VALU_DEP_1)
	v_lshlrev_b64 v[65:66], 4, v[65:66]
	s_waitcnt lgkmcnt(0)
	v_add_co_u32 v65, vcc_lo, s0, v65
	s_delay_alu instid0(VALU_DEP_2)
	v_add_co_ci_u32_e32 v66, vcc_lo, s1, v66, vcc_lo
	s_clause 0xf
	global_store_b128 v[65:66], v[61:64], off
	global_store_b128 v[65:66], v[57:60], off offset:16
	global_store_b128 v[65:66], v[53:56], off offset:32
	;; [unrolled: 1-line block ×15, first 2 shown]
	s_nop 0
	s_sendmsg sendmsg(MSG_DEALLOC_VGPRS)
	s_endpgm
	.section	.rodata,"a",@progbits
	.p2align	6, 0x0
	.amdhsa_kernel _Z20warp_exchange_kernelILj256ELj16ELj16EN6common18BlockedToStripedOpEoEvPT3_j
		.amdhsa_group_segment_fixed_size 65536
		.amdhsa_private_segment_fixed_size 0
		.amdhsa_kernarg_size 12
		.amdhsa_user_sgpr_count 15
		.amdhsa_user_sgpr_dispatch_ptr 0
		.amdhsa_user_sgpr_queue_ptr 0
		.amdhsa_user_sgpr_kernarg_segment_ptr 1
		.amdhsa_user_sgpr_dispatch_id 0
		.amdhsa_user_sgpr_private_segment_size 0
		.amdhsa_wavefront_size32 1
		.amdhsa_uses_dynamic_stack 0
		.amdhsa_enable_private_segment 0
		.amdhsa_system_sgpr_workgroup_id_x 1
		.amdhsa_system_sgpr_workgroup_id_y 0
		.amdhsa_system_sgpr_workgroup_id_z 0
		.amdhsa_system_sgpr_workgroup_info 0
		.amdhsa_system_vgpr_workitem_id 0
		.amdhsa_next_free_vgpr 68
		.amdhsa_next_free_sgpr 16
		.amdhsa_reserve_vcc 1
		.amdhsa_float_round_mode_32 0
		.amdhsa_float_round_mode_16_64 0
		.amdhsa_float_denorm_mode_32 3
		.amdhsa_float_denorm_mode_16_64 3
		.amdhsa_dx10_clamp 1
		.amdhsa_ieee_mode 1
		.amdhsa_fp16_overflow 0
		.amdhsa_workgroup_processor_mode 1
		.amdhsa_memory_ordered 1
		.amdhsa_forward_progress 0
		.amdhsa_shared_vgpr_count 0
		.amdhsa_exception_fp_ieee_invalid_op 0
		.amdhsa_exception_fp_denorm_src 0
		.amdhsa_exception_fp_ieee_div_zero 0
		.amdhsa_exception_fp_ieee_overflow 0
		.amdhsa_exception_fp_ieee_underflow 0
		.amdhsa_exception_fp_ieee_inexact 0
		.amdhsa_exception_int_div_zero 0
	.end_amdhsa_kernel
	.section	.text._Z20warp_exchange_kernelILj256ELj16ELj16EN6common18BlockedToStripedOpEoEvPT3_j,"axG",@progbits,_Z20warp_exchange_kernelILj256ELj16ELj16EN6common18BlockedToStripedOpEoEvPT3_j,comdat
.Lfunc_end68:
	.size	_Z20warp_exchange_kernelILj256ELj16ELj16EN6common18BlockedToStripedOpEoEvPT3_j, .Lfunc_end68-_Z20warp_exchange_kernelILj256ELj16ELj16EN6common18BlockedToStripedOpEoEvPT3_j
                                        ; -- End function
	.section	.AMDGPU.csdata,"",@progbits
; Kernel info:
; codeLenInByte = 1080
; NumSgprs: 18
; NumVgprs: 68
; ScratchSize: 0
; MemoryBound: 1
; FloatMode: 240
; IeeeMode: 1
; LDSByteSize: 65536 bytes/workgroup (compile time only)
; SGPRBlocks: 2
; VGPRBlocks: 8
; NumSGPRsForWavesPerEU: 18
; NumVGPRsForWavesPerEU: 68
; Occupancy: 4
; WaveLimiterHint : 1
; COMPUTE_PGM_RSRC2:SCRATCH_EN: 0
; COMPUTE_PGM_RSRC2:USER_SGPR: 15
; COMPUTE_PGM_RSRC2:TRAP_HANDLER: 0
; COMPUTE_PGM_RSRC2:TGID_X_EN: 1
; COMPUTE_PGM_RSRC2:TGID_Y_EN: 0
; COMPUTE_PGM_RSRC2:TGID_Z_EN: 0
; COMPUTE_PGM_RSRC2:TIDIG_COMP_CNT: 0
	.section	.text._Z20warp_exchange_kernelILj256ELj16ELj32EN6common18BlockedToStripedOpEoEvPT3_j,"axG",@progbits,_Z20warp_exchange_kernelILj256ELj16ELj32EN6common18BlockedToStripedOpEoEvPT3_j,comdat
	.protected	_Z20warp_exchange_kernelILj256ELj16ELj32EN6common18BlockedToStripedOpEoEvPT3_j ; -- Begin function _Z20warp_exchange_kernelILj256ELj16ELj32EN6common18BlockedToStripedOpEoEvPT3_j
	.globl	_Z20warp_exchange_kernelILj256ELj16ELj32EN6common18BlockedToStripedOpEoEvPT3_j
	.p2align	8
	.type	_Z20warp_exchange_kernelILj256ELj16ELj32EN6common18BlockedToStripedOpEoEvPT3_j,@function
_Z20warp_exchange_kernelILj256ELj16ELj32EN6common18BlockedToStripedOpEoEvPT3_j: ; @_Z20warp_exchange_kernelILj256ELj16ELj32EN6common18BlockedToStripedOpEoEvPT3_j
; %bb.0:
	s_load_b32 s2, s[0:1], 0x8
	v_lshlrev_b32_e32 v65, 4, v0
	s_delay_alu instid0(VALU_DEP_1)
	v_or_b32_e32 v57, 1, v65
	v_or_b32_e32 v53, 2, v65
	;; [unrolled: 1-line block ×15, first 2 shown]
	s_waitcnt lgkmcnt(0)
	s_cmp_eq_u32 s2, 0
	s_cbranch_scc1 .LBB69_3
; %bb.1:
	v_lshlrev_b32_e32 v0, 8, v0
	v_dual_mov_b32 v2, 0 :: v_dual_mov_b32 v63, 0
	v_dual_mov_b32 v64, 0 :: v_dual_mov_b32 v3, 0
	s_delay_alu instid0(VALU_DEP_3) | instskip(SKIP_1) | instid1(VALU_DEP_4)
	v_dual_mov_b32 v4, 0 :: v_dual_and_b32 v7, 0xe000, v0
	v_mbcnt_lo_u32_b32 v8, -1, 0
	v_mov_b32_e32 v66, v2
	v_dual_mov_b32 v58, v2 :: v_dual_mov_b32 v61, v65
	s_delay_alu instid0(VALU_DEP_4) | instskip(NEXT) | instid1(VALU_DEP_4)
	v_mov_b32_e32 v12, v4
	v_lshl_or_b32 v0, v8, 8, v7
	v_lshl_or_b32 v67, v8, 4, v7
	v_mov_b32_e32 v8, v4
	v_mov_b32_e32 v16, v4
	;; [unrolled: 1-line block ×13, first 2 shown]
	v_dual_mov_b32 v6, v2 :: v_dual_mov_b32 v7, v3
	v_dual_mov_b32 v10, v2 :: v_dual_mov_b32 v11, v3
	;; [unrolled: 1-line block ×14, first 2 shown]
.LBB69_2:                               ; =>This Inner Loop Header: Depth=1
	s_waitcnt lgkmcnt(15)
	ds_store_b128 v0, v[61:64]
	s_waitcnt lgkmcnt(15)
	ds_store_b128 v0, v[57:60] offset:16
	s_waitcnt lgkmcnt(15)
	ds_store_b128 v0, v[53:56] offset:32
	;; [unrolled: 2-line block ×15, first 2 shown]
	; wave barrier
	ds_load_b128 v[61:64], v67
	ds_load_b128 v[57:60], v67 offset:512
	ds_load_b128 v[53:56], v67 offset:1024
	;; [unrolled: 1-line block ×15, first 2 shown]
	s_add_i32 s2, s2, -1
	s_delay_alu instid0(SALU_CYCLE_1)
	s_cmp_lg_u32 s2, 0
	; wave barrier
	s_cbranch_scc1 .LBB69_2
	s_branch .LBB69_4
.LBB69_3:
	v_dual_mov_b32 v66, 0 :: v_dual_mov_b32 v3, 0
	v_dual_mov_b32 v4, 0 :: v_dual_mov_b32 v63, 0
	;; [unrolled: 1-line block ×3, first 2 shown]
	s_delay_alu instid0(VALU_DEP_2)
	v_dual_mov_b32 v58, v66 :: v_dual_mov_b32 v59, v63
	v_dual_mov_b32 v54, v66 :: v_dual_mov_b32 v55, v63
	;; [unrolled: 1-line block ×14, first 2 shown]
	v_mov_b32_e32 v2, v66
	v_mov_b32_e32 v62, v66
	;; [unrolled: 1-line block ×16, first 2 shown]
.LBB69_4:
	s_load_b64 s[0:1], s[0:1], 0x0
	v_lshl_or_b32 v65, s15, 12, v65
	v_mov_b32_e32 v66, 0
	s_delay_alu instid0(VALU_DEP_1) | instskip(SKIP_1) | instid1(VALU_DEP_1)
	v_lshlrev_b64 v[65:66], 4, v[65:66]
	s_waitcnt lgkmcnt(0)
	v_add_co_u32 v65, vcc_lo, s0, v65
	s_delay_alu instid0(VALU_DEP_2)
	v_add_co_ci_u32_e32 v66, vcc_lo, s1, v66, vcc_lo
	s_clause 0xf
	global_store_b128 v[65:66], v[61:64], off
	global_store_b128 v[65:66], v[57:60], off offset:16
	global_store_b128 v[65:66], v[53:56], off offset:32
	;; [unrolled: 1-line block ×15, first 2 shown]
	s_nop 0
	s_sendmsg sendmsg(MSG_DEALLOC_VGPRS)
	s_endpgm
	.section	.rodata,"a",@progbits
	.p2align	6, 0x0
	.amdhsa_kernel _Z20warp_exchange_kernelILj256ELj16ELj32EN6common18BlockedToStripedOpEoEvPT3_j
		.amdhsa_group_segment_fixed_size 65536
		.amdhsa_private_segment_fixed_size 0
		.amdhsa_kernarg_size 12
		.amdhsa_user_sgpr_count 15
		.amdhsa_user_sgpr_dispatch_ptr 0
		.amdhsa_user_sgpr_queue_ptr 0
		.amdhsa_user_sgpr_kernarg_segment_ptr 1
		.amdhsa_user_sgpr_dispatch_id 0
		.amdhsa_user_sgpr_private_segment_size 0
		.amdhsa_wavefront_size32 1
		.amdhsa_uses_dynamic_stack 0
		.amdhsa_enable_private_segment 0
		.amdhsa_system_sgpr_workgroup_id_x 1
		.amdhsa_system_sgpr_workgroup_id_y 0
		.amdhsa_system_sgpr_workgroup_id_z 0
		.amdhsa_system_sgpr_workgroup_info 0
		.amdhsa_system_vgpr_workitem_id 0
		.amdhsa_next_free_vgpr 68
		.amdhsa_next_free_sgpr 16
		.amdhsa_reserve_vcc 1
		.amdhsa_float_round_mode_32 0
		.amdhsa_float_round_mode_16_64 0
		.amdhsa_float_denorm_mode_32 3
		.amdhsa_float_denorm_mode_16_64 3
		.amdhsa_dx10_clamp 1
		.amdhsa_ieee_mode 1
		.amdhsa_fp16_overflow 0
		.amdhsa_workgroup_processor_mode 1
		.amdhsa_memory_ordered 1
		.amdhsa_forward_progress 0
		.amdhsa_shared_vgpr_count 0
		.amdhsa_exception_fp_ieee_invalid_op 0
		.amdhsa_exception_fp_denorm_src 0
		.amdhsa_exception_fp_ieee_div_zero 0
		.amdhsa_exception_fp_ieee_overflow 0
		.amdhsa_exception_fp_ieee_underflow 0
		.amdhsa_exception_fp_ieee_inexact 0
		.amdhsa_exception_int_div_zero 0
	.end_amdhsa_kernel
	.section	.text._Z20warp_exchange_kernelILj256ELj16ELj32EN6common18BlockedToStripedOpEoEvPT3_j,"axG",@progbits,_Z20warp_exchange_kernelILj256ELj16ELj32EN6common18BlockedToStripedOpEoEvPT3_j,comdat
.Lfunc_end69:
	.size	_Z20warp_exchange_kernelILj256ELj16ELj32EN6common18BlockedToStripedOpEoEvPT3_j, .Lfunc_end69-_Z20warp_exchange_kernelILj256ELj16ELj32EN6common18BlockedToStripedOpEoEvPT3_j
                                        ; -- End function
	.section	.AMDGPU.csdata,"",@progbits
; Kernel info:
; codeLenInByte = 1072
; NumSgprs: 18
; NumVgprs: 68
; ScratchSize: 0
; MemoryBound: 1
; FloatMode: 240
; IeeeMode: 1
; LDSByteSize: 65536 bytes/workgroup (compile time only)
; SGPRBlocks: 2
; VGPRBlocks: 8
; NumSGPRsForWavesPerEU: 18
; NumVGPRsForWavesPerEU: 68
; Occupancy: 4
; WaveLimiterHint : 1
; COMPUTE_PGM_RSRC2:SCRATCH_EN: 0
; COMPUTE_PGM_RSRC2:USER_SGPR: 15
; COMPUTE_PGM_RSRC2:TRAP_HANDLER: 0
; COMPUTE_PGM_RSRC2:TGID_X_EN: 1
; COMPUTE_PGM_RSRC2:TGID_Y_EN: 0
; COMPUTE_PGM_RSRC2:TGID_Z_EN: 0
; COMPUTE_PGM_RSRC2:TIDIG_COMP_CNT: 0
	.section	.text._Z20warp_exchange_kernelILj256ELj1ELj16EN6common18StripedToBlockedOpEoEvPT3_j,"axG",@progbits,_Z20warp_exchange_kernelILj256ELj1ELj16EN6common18StripedToBlockedOpEoEvPT3_j,comdat
	.protected	_Z20warp_exchange_kernelILj256ELj1ELj16EN6common18StripedToBlockedOpEoEvPT3_j ; -- Begin function _Z20warp_exchange_kernelILj256ELj1ELj16EN6common18StripedToBlockedOpEoEvPT3_j
	.globl	_Z20warp_exchange_kernelILj256ELj1ELj16EN6common18StripedToBlockedOpEoEvPT3_j
	.p2align	8
	.type	_Z20warp_exchange_kernelILj256ELj1ELj16EN6common18StripedToBlockedOpEoEvPT3_j,@function
_Z20warp_exchange_kernelILj256ELj1ELj16EN6common18StripedToBlockedOpEoEvPT3_j: ; @_Z20warp_exchange_kernelILj256ELj1ELj16EN6common18StripedToBlockedOpEoEvPT3_j
; %bb.0:
	s_load_b32 s2, s[0:1], 0x8
	v_mov_b32_e32 v1, 0
	s_waitcnt lgkmcnt(0)
	s_cmp_eq_u32 s2, 0
	s_cbranch_scc1 .LBB70_3
; %bb.1:
	v_mbcnt_lo_u32_b32 v2, -1, 0
	v_lshlrev_b32_e32 v5, 4, v0
	v_mov_b32_e32 v3, 0
	v_mov_b32_e32 v4, 0
	s_delay_alu instid0(VALU_DEP_4) | instskip(NEXT) | instid1(VALU_DEP_1)
	v_and_b32_e32 v2, 15, v2
	v_lshlrev_b32_e32 v2, 4, v2
	s_delay_alu instid0(VALU_DEP_1)
	v_and_or_b32 v5, 0xf00, v5, v2
	v_mov_b32_e32 v2, v1
	v_mov_b32_e32 v1, v0
.LBB70_2:                               ; =>This Inner Loop Header: Depth=1
	s_waitcnt lgkmcnt(0)
	ds_store_b128 v5, v[1:4]
	; wave barrier
	ds_load_b128 v[1:4], v5
	s_add_i32 s2, s2, -1
	s_delay_alu instid0(SALU_CYCLE_1)
	s_cmp_lg_u32 s2, 0
	; wave barrier
	s_cbranch_scc1 .LBB70_2
	s_branch .LBB70_4
.LBB70_3:
	s_delay_alu instid0(VALU_DEP_1)
	v_dual_mov_b32 v3, 0 :: v_dual_mov_b32 v2, v1
	v_dual_mov_b32 v4, 0 :: v_dual_mov_b32 v1, v0
.LBB70_4:
	s_load_b64 s[0:1], s[0:1], 0x0
	v_lshl_or_b32 v5, s15, 8, v0
	v_mov_b32_e32 v6, 0
	s_delay_alu instid0(VALU_DEP_1) | instskip(SKIP_1) | instid1(VALU_DEP_1)
	v_lshlrev_b64 v[5:6], 4, v[5:6]
	s_waitcnt lgkmcnt(0)
	v_add_co_u32 v5, vcc_lo, s0, v5
	s_delay_alu instid0(VALU_DEP_2)
	v_add_co_ci_u32_e32 v6, vcc_lo, s1, v6, vcc_lo
	global_store_b128 v[5:6], v[1:4], off
	s_nop 0
	s_sendmsg sendmsg(MSG_DEALLOC_VGPRS)
	s_endpgm
	.section	.rodata,"a",@progbits
	.p2align	6, 0x0
	.amdhsa_kernel _Z20warp_exchange_kernelILj256ELj1ELj16EN6common18StripedToBlockedOpEoEvPT3_j
		.amdhsa_group_segment_fixed_size 4096
		.amdhsa_private_segment_fixed_size 0
		.amdhsa_kernarg_size 12
		.amdhsa_user_sgpr_count 15
		.amdhsa_user_sgpr_dispatch_ptr 0
		.amdhsa_user_sgpr_queue_ptr 0
		.amdhsa_user_sgpr_kernarg_segment_ptr 1
		.amdhsa_user_sgpr_dispatch_id 0
		.amdhsa_user_sgpr_private_segment_size 0
		.amdhsa_wavefront_size32 1
		.amdhsa_uses_dynamic_stack 0
		.amdhsa_enable_private_segment 0
		.amdhsa_system_sgpr_workgroup_id_x 1
		.amdhsa_system_sgpr_workgroup_id_y 0
		.amdhsa_system_sgpr_workgroup_id_z 0
		.amdhsa_system_sgpr_workgroup_info 0
		.amdhsa_system_vgpr_workitem_id 0
		.amdhsa_next_free_vgpr 7
		.amdhsa_next_free_sgpr 16
		.amdhsa_reserve_vcc 1
		.amdhsa_float_round_mode_32 0
		.amdhsa_float_round_mode_16_64 0
		.amdhsa_float_denorm_mode_32 3
		.amdhsa_float_denorm_mode_16_64 3
		.amdhsa_dx10_clamp 1
		.amdhsa_ieee_mode 1
		.amdhsa_fp16_overflow 0
		.amdhsa_workgroup_processor_mode 1
		.amdhsa_memory_ordered 1
		.amdhsa_forward_progress 0
		.amdhsa_shared_vgpr_count 0
		.amdhsa_exception_fp_ieee_invalid_op 0
		.amdhsa_exception_fp_denorm_src 0
		.amdhsa_exception_fp_ieee_div_zero 0
		.amdhsa_exception_fp_ieee_overflow 0
		.amdhsa_exception_fp_ieee_underflow 0
		.amdhsa_exception_fp_ieee_inexact 0
		.amdhsa_exception_int_div_zero 0
	.end_amdhsa_kernel
	.section	.text._Z20warp_exchange_kernelILj256ELj1ELj16EN6common18StripedToBlockedOpEoEvPT3_j,"axG",@progbits,_Z20warp_exchange_kernelILj256ELj1ELj16EN6common18StripedToBlockedOpEoEvPT3_j,comdat
.Lfunc_end70:
	.size	_Z20warp_exchange_kernelILj256ELj1ELj16EN6common18StripedToBlockedOpEoEvPT3_j, .Lfunc_end70-_Z20warp_exchange_kernelILj256ELj1ELj16EN6common18StripedToBlockedOpEoEvPT3_j
                                        ; -- End function
	.section	.AMDGPU.csdata,"",@progbits
; Kernel info:
; codeLenInByte = 212
; NumSgprs: 18
; NumVgprs: 7
; ScratchSize: 0
; MemoryBound: 0
; FloatMode: 240
; IeeeMode: 1
; LDSByteSize: 4096 bytes/workgroup (compile time only)
; SGPRBlocks: 2
; VGPRBlocks: 0
; NumSGPRsForWavesPerEU: 18
; NumVGPRsForWavesPerEU: 7
; Occupancy: 16
; WaveLimiterHint : 0
; COMPUTE_PGM_RSRC2:SCRATCH_EN: 0
; COMPUTE_PGM_RSRC2:USER_SGPR: 15
; COMPUTE_PGM_RSRC2:TRAP_HANDLER: 0
; COMPUTE_PGM_RSRC2:TGID_X_EN: 1
; COMPUTE_PGM_RSRC2:TGID_Y_EN: 0
; COMPUTE_PGM_RSRC2:TGID_Z_EN: 0
; COMPUTE_PGM_RSRC2:TIDIG_COMP_CNT: 0
	.section	.text._Z20warp_exchange_kernelILj256ELj1ELj32EN6common18StripedToBlockedOpEoEvPT3_j,"axG",@progbits,_Z20warp_exchange_kernelILj256ELj1ELj32EN6common18StripedToBlockedOpEoEvPT3_j,comdat
	.protected	_Z20warp_exchange_kernelILj256ELj1ELj32EN6common18StripedToBlockedOpEoEvPT3_j ; -- Begin function _Z20warp_exchange_kernelILj256ELj1ELj32EN6common18StripedToBlockedOpEoEvPT3_j
	.globl	_Z20warp_exchange_kernelILj256ELj1ELj32EN6common18StripedToBlockedOpEoEvPT3_j
	.p2align	8
	.type	_Z20warp_exchange_kernelILj256ELj1ELj32EN6common18StripedToBlockedOpEoEvPT3_j,@function
_Z20warp_exchange_kernelILj256ELj1ELj32EN6common18StripedToBlockedOpEoEvPT3_j: ; @_Z20warp_exchange_kernelILj256ELj1ELj32EN6common18StripedToBlockedOpEoEvPT3_j
; %bb.0:
	s_load_b32 s2, s[0:1], 0x8
	v_mov_b32_e32 v1, 0
	s_waitcnt lgkmcnt(0)
	s_cmp_eq_u32 s2, 0
	s_cbranch_scc1 .LBB71_3
; %bb.1:
	v_mbcnt_lo_u32_b32 v2, -1, 0
	v_lshlrev_b32_e32 v5, 4, v0
	v_mov_b32_e32 v3, 0
	v_mov_b32_e32 v4, 0
	s_delay_alu instid0(VALU_DEP_4) | instskip(NEXT) | instid1(VALU_DEP_1)
	v_lshlrev_b32_e32 v2, 4, v2
	v_and_or_b32 v5, 0xe00, v5, v2
	v_mov_b32_e32 v2, v1
	v_mov_b32_e32 v1, v0
.LBB71_2:                               ; =>This Inner Loop Header: Depth=1
	s_waitcnt lgkmcnt(0)
	ds_store_b128 v5, v[1:4]
	; wave barrier
	ds_load_b128 v[1:4], v5
	s_add_i32 s2, s2, -1
	s_delay_alu instid0(SALU_CYCLE_1)
	s_cmp_lg_u32 s2, 0
	; wave barrier
	s_cbranch_scc1 .LBB71_2
	s_branch .LBB71_4
.LBB71_3:
	s_delay_alu instid0(VALU_DEP_1)
	v_dual_mov_b32 v3, 0 :: v_dual_mov_b32 v2, v1
	v_dual_mov_b32 v4, 0 :: v_dual_mov_b32 v1, v0
.LBB71_4:
	s_load_b64 s[0:1], s[0:1], 0x0
	v_lshl_or_b32 v5, s15, 8, v0
	v_mov_b32_e32 v6, 0
	s_delay_alu instid0(VALU_DEP_1) | instskip(SKIP_1) | instid1(VALU_DEP_1)
	v_lshlrev_b64 v[5:6], 4, v[5:6]
	s_waitcnt lgkmcnt(0)
	v_add_co_u32 v5, vcc_lo, s0, v5
	s_delay_alu instid0(VALU_DEP_2)
	v_add_co_ci_u32_e32 v6, vcc_lo, s1, v6, vcc_lo
	global_store_b128 v[5:6], v[1:4], off
	s_nop 0
	s_sendmsg sendmsg(MSG_DEALLOC_VGPRS)
	s_endpgm
	.section	.rodata,"a",@progbits
	.p2align	6, 0x0
	.amdhsa_kernel _Z20warp_exchange_kernelILj256ELj1ELj32EN6common18StripedToBlockedOpEoEvPT3_j
		.amdhsa_group_segment_fixed_size 4096
		.amdhsa_private_segment_fixed_size 0
		.amdhsa_kernarg_size 12
		.amdhsa_user_sgpr_count 15
		.amdhsa_user_sgpr_dispatch_ptr 0
		.amdhsa_user_sgpr_queue_ptr 0
		.amdhsa_user_sgpr_kernarg_segment_ptr 1
		.amdhsa_user_sgpr_dispatch_id 0
		.amdhsa_user_sgpr_private_segment_size 0
		.amdhsa_wavefront_size32 1
		.amdhsa_uses_dynamic_stack 0
		.amdhsa_enable_private_segment 0
		.amdhsa_system_sgpr_workgroup_id_x 1
		.amdhsa_system_sgpr_workgroup_id_y 0
		.amdhsa_system_sgpr_workgroup_id_z 0
		.amdhsa_system_sgpr_workgroup_info 0
		.amdhsa_system_vgpr_workitem_id 0
		.amdhsa_next_free_vgpr 7
		.amdhsa_next_free_sgpr 16
		.amdhsa_reserve_vcc 1
		.amdhsa_float_round_mode_32 0
		.amdhsa_float_round_mode_16_64 0
		.amdhsa_float_denorm_mode_32 3
		.amdhsa_float_denorm_mode_16_64 3
		.amdhsa_dx10_clamp 1
		.amdhsa_ieee_mode 1
		.amdhsa_fp16_overflow 0
		.amdhsa_workgroup_processor_mode 1
		.amdhsa_memory_ordered 1
		.amdhsa_forward_progress 0
		.amdhsa_shared_vgpr_count 0
		.amdhsa_exception_fp_ieee_invalid_op 0
		.amdhsa_exception_fp_denorm_src 0
		.amdhsa_exception_fp_ieee_div_zero 0
		.amdhsa_exception_fp_ieee_overflow 0
		.amdhsa_exception_fp_ieee_underflow 0
		.amdhsa_exception_fp_ieee_inexact 0
		.amdhsa_exception_int_div_zero 0
	.end_amdhsa_kernel
	.section	.text._Z20warp_exchange_kernelILj256ELj1ELj32EN6common18StripedToBlockedOpEoEvPT3_j,"axG",@progbits,_Z20warp_exchange_kernelILj256ELj1ELj32EN6common18StripedToBlockedOpEoEvPT3_j,comdat
.Lfunc_end71:
	.size	_Z20warp_exchange_kernelILj256ELj1ELj32EN6common18StripedToBlockedOpEoEvPT3_j, .Lfunc_end71-_Z20warp_exchange_kernelILj256ELj1ELj32EN6common18StripedToBlockedOpEoEvPT3_j
                                        ; -- End function
	.section	.AMDGPU.csdata,"",@progbits
; Kernel info:
; codeLenInByte = 204
; NumSgprs: 18
; NumVgprs: 7
; ScratchSize: 0
; MemoryBound: 0
; FloatMode: 240
; IeeeMode: 1
; LDSByteSize: 4096 bytes/workgroup (compile time only)
; SGPRBlocks: 2
; VGPRBlocks: 0
; NumSGPRsForWavesPerEU: 18
; NumVGPRsForWavesPerEU: 7
; Occupancy: 16
; WaveLimiterHint : 0
; COMPUTE_PGM_RSRC2:SCRATCH_EN: 0
; COMPUTE_PGM_RSRC2:USER_SGPR: 15
; COMPUTE_PGM_RSRC2:TRAP_HANDLER: 0
; COMPUTE_PGM_RSRC2:TGID_X_EN: 1
; COMPUTE_PGM_RSRC2:TGID_Y_EN: 0
; COMPUTE_PGM_RSRC2:TGID_Z_EN: 0
; COMPUTE_PGM_RSRC2:TIDIG_COMP_CNT: 0
	.section	.text._Z20warp_exchange_kernelILj256ELj4ELj16EN6common18StripedToBlockedOpEoEvPT3_j,"axG",@progbits,_Z20warp_exchange_kernelILj256ELj4ELj16EN6common18StripedToBlockedOpEoEvPT3_j,comdat
	.protected	_Z20warp_exchange_kernelILj256ELj4ELj16EN6common18StripedToBlockedOpEoEvPT3_j ; -- Begin function _Z20warp_exchange_kernelILj256ELj4ELj16EN6common18StripedToBlockedOpEoEvPT3_j
	.globl	_Z20warp_exchange_kernelILj256ELj4ELj16EN6common18StripedToBlockedOpEoEvPT3_j
	.p2align	8
	.type	_Z20warp_exchange_kernelILj256ELj4ELj16EN6common18StripedToBlockedOpEoEvPT3_j,@function
_Z20warp_exchange_kernelILj256ELj4ELj16EN6common18StripedToBlockedOpEoEvPT3_j: ; @_Z20warp_exchange_kernelILj256ELj4ELj16EN6common18StripedToBlockedOpEoEvPT3_j
; %bb.0:
	s_load_b32 s2, s[0:1], 0x8
	v_lshlrev_b32_e32 v17, 2, v0
	s_delay_alu instid0(VALU_DEP_1)
	v_or_b32_e32 v9, 1, v17
	v_or_b32_e32 v5, 2, v17
	v_or_b32_e32 v1, 3, v17
	s_waitcnt lgkmcnt(0)
	s_cmp_eq_u32 s2, 0
	s_cbranch_scc1 .LBB72_3
; %bb.1:
	v_mbcnt_lo_u32_b32 v2, -1, 0
	v_dual_mov_b32 v15, 0 :: v_dual_lshlrev_b32 v0, 6, v0
	v_mov_b32_e32 v3, 0
	s_delay_alu instid0(VALU_DEP_3) | instskip(NEXT) | instid1(VALU_DEP_1)
	v_dual_mov_b32 v2, 0 :: v_dual_and_b32 v7, 15, v2
	v_lshlrev_b32_e32 v8, 4, v7
	v_mul_u32_u24_e32 v13, 48, v7
	s_delay_alu instid0(VALU_DEP_3) | instskip(SKIP_1) | instid1(VALU_DEP_4)
	v_mov_b32_e32 v18, v2
	v_mov_b32_e32 v10, v2
	v_and_or_b32 v0, 0x3c00, v0, v8
	s_delay_alu instid0(VALU_DEP_1) | instskip(NEXT) | instid1(VALU_DEP_1)
	v_dual_mov_b32 v4, 0 :: v_dual_add_nc_u32 v19, v0, v13
	v_mov_b32_e32 v8, v4
	v_dual_mov_b32 v12, v4 :: v_dual_mov_b32 v13, v17
	v_dual_mov_b32 v16, 0 :: v_dual_mov_b32 v7, v3
	;; [unrolled: 1-line block ×3, first 2 shown]
	v_mov_b32_e32 v14, v18
	.p2align	6
.LBB72_2:                               ; =>This Inner Loop Header: Depth=1
	s_waitcnt lgkmcnt(3)
	ds_store_b128 v0, v[13:16]
	s_waitcnt lgkmcnt(3)
	ds_store_b128 v0, v[9:12] offset:256
	s_waitcnt lgkmcnt(3)
	ds_store_b128 v0, v[5:8] offset:512
	;; [unrolled: 2-line block ×3, first 2 shown]
	; wave barrier
	ds_load_b128 v[13:16], v19
	ds_load_b128 v[9:12], v19 offset:16
	ds_load_b128 v[5:8], v19 offset:32
	;; [unrolled: 1-line block ×3, first 2 shown]
	s_add_i32 s2, s2, -1
	s_delay_alu instid0(SALU_CYCLE_1)
	s_cmp_lg_u32 s2, 0
	; wave barrier
	s_cbranch_scc1 .LBB72_2
	s_branch .LBB72_4
.LBB72_3:
	v_dual_mov_b32 v18, 0 :: v_dual_mov_b32 v15, 0
	v_dual_mov_b32 v16, 0 :: v_dual_mov_b32 v3, 0
	v_dual_mov_b32 v4, 0 :: v_dual_mov_b32 v13, v17
	s_delay_alu instid0(VALU_DEP_3)
	v_dual_mov_b32 v10, v18 :: v_dual_mov_b32 v11, v15
	v_dual_mov_b32 v6, v18 :: v_dual_mov_b32 v7, v15
	v_mov_b32_e32 v2, v18
	v_mov_b32_e32 v14, v18
	;; [unrolled: 1-line block ×4, first 2 shown]
.LBB72_4:
	s_load_b64 s[0:1], s[0:1], 0x0
	v_lshl_or_b32 v17, s15, 10, v17
	v_mov_b32_e32 v18, 0
	s_delay_alu instid0(VALU_DEP_1) | instskip(SKIP_1) | instid1(VALU_DEP_1)
	v_lshlrev_b64 v[17:18], 4, v[17:18]
	s_waitcnt lgkmcnt(0)
	v_add_co_u32 v17, vcc_lo, s0, v17
	s_delay_alu instid0(VALU_DEP_2)
	v_add_co_ci_u32_e32 v18, vcc_lo, s1, v18, vcc_lo
	s_clause 0x3
	global_store_b128 v[17:18], v[13:16], off
	global_store_b128 v[17:18], v[9:12], off offset:16
	global_store_b128 v[17:18], v[5:8], off offset:32
	;; [unrolled: 1-line block ×3, first 2 shown]
	s_nop 0
	s_sendmsg sendmsg(MSG_DEALLOC_VGPRS)
	s_endpgm
	.section	.rodata,"a",@progbits
	.p2align	6, 0x0
	.amdhsa_kernel _Z20warp_exchange_kernelILj256ELj4ELj16EN6common18StripedToBlockedOpEoEvPT3_j
		.amdhsa_group_segment_fixed_size 16384
		.amdhsa_private_segment_fixed_size 0
		.amdhsa_kernarg_size 12
		.amdhsa_user_sgpr_count 15
		.amdhsa_user_sgpr_dispatch_ptr 0
		.amdhsa_user_sgpr_queue_ptr 0
		.amdhsa_user_sgpr_kernarg_segment_ptr 1
		.amdhsa_user_sgpr_dispatch_id 0
		.amdhsa_user_sgpr_private_segment_size 0
		.amdhsa_wavefront_size32 1
		.amdhsa_uses_dynamic_stack 0
		.amdhsa_enable_private_segment 0
		.amdhsa_system_sgpr_workgroup_id_x 1
		.amdhsa_system_sgpr_workgroup_id_y 0
		.amdhsa_system_sgpr_workgroup_id_z 0
		.amdhsa_system_sgpr_workgroup_info 0
		.amdhsa_system_vgpr_workitem_id 0
		.amdhsa_next_free_vgpr 20
		.amdhsa_next_free_sgpr 16
		.amdhsa_reserve_vcc 1
		.amdhsa_float_round_mode_32 0
		.amdhsa_float_round_mode_16_64 0
		.amdhsa_float_denorm_mode_32 3
		.amdhsa_float_denorm_mode_16_64 3
		.amdhsa_dx10_clamp 1
		.amdhsa_ieee_mode 1
		.amdhsa_fp16_overflow 0
		.amdhsa_workgroup_processor_mode 1
		.amdhsa_memory_ordered 1
		.amdhsa_forward_progress 0
		.amdhsa_shared_vgpr_count 0
		.amdhsa_exception_fp_ieee_invalid_op 0
		.amdhsa_exception_fp_denorm_src 0
		.amdhsa_exception_fp_ieee_div_zero 0
		.amdhsa_exception_fp_ieee_overflow 0
		.amdhsa_exception_fp_ieee_underflow 0
		.amdhsa_exception_fp_ieee_inexact 0
		.amdhsa_exception_int_div_zero 0
	.end_amdhsa_kernel
	.section	.text._Z20warp_exchange_kernelILj256ELj4ELj16EN6common18StripedToBlockedOpEoEvPT3_j,"axG",@progbits,_Z20warp_exchange_kernelILj256ELj4ELj16EN6common18StripedToBlockedOpEoEvPT3_j,comdat
.Lfunc_end72:
	.size	_Z20warp_exchange_kernelILj256ELj4ELj16EN6common18StripedToBlockedOpEoEvPT3_j, .Lfunc_end72-_Z20warp_exchange_kernelILj256ELj4ELj16EN6common18StripedToBlockedOpEoEvPT3_j
                                        ; -- End function
	.section	.AMDGPU.csdata,"",@progbits
; Kernel info:
; codeLenInByte = 408
; NumSgprs: 18
; NumVgprs: 20
; ScratchSize: 0
; MemoryBound: 0
; FloatMode: 240
; IeeeMode: 1
; LDSByteSize: 16384 bytes/workgroup (compile time only)
; SGPRBlocks: 2
; VGPRBlocks: 2
; NumSGPRsForWavesPerEU: 18
; NumVGPRsForWavesPerEU: 20
; Occupancy: 16
; WaveLimiterHint : 0
; COMPUTE_PGM_RSRC2:SCRATCH_EN: 0
; COMPUTE_PGM_RSRC2:USER_SGPR: 15
; COMPUTE_PGM_RSRC2:TRAP_HANDLER: 0
; COMPUTE_PGM_RSRC2:TGID_X_EN: 1
; COMPUTE_PGM_RSRC2:TGID_Y_EN: 0
; COMPUTE_PGM_RSRC2:TGID_Z_EN: 0
; COMPUTE_PGM_RSRC2:TIDIG_COMP_CNT: 0
	.section	.text._Z20warp_exchange_kernelILj256ELj4ELj32EN6common18StripedToBlockedOpEoEvPT3_j,"axG",@progbits,_Z20warp_exchange_kernelILj256ELj4ELj32EN6common18StripedToBlockedOpEoEvPT3_j,comdat
	.protected	_Z20warp_exchange_kernelILj256ELj4ELj32EN6common18StripedToBlockedOpEoEvPT3_j ; -- Begin function _Z20warp_exchange_kernelILj256ELj4ELj32EN6common18StripedToBlockedOpEoEvPT3_j
	.globl	_Z20warp_exchange_kernelILj256ELj4ELj32EN6common18StripedToBlockedOpEoEvPT3_j
	.p2align	8
	.type	_Z20warp_exchange_kernelILj256ELj4ELj32EN6common18StripedToBlockedOpEoEvPT3_j,@function
_Z20warp_exchange_kernelILj256ELj4ELj32EN6common18StripedToBlockedOpEoEvPT3_j: ; @_Z20warp_exchange_kernelILj256ELj4ELj32EN6common18StripedToBlockedOpEoEvPT3_j
; %bb.0:
	s_load_b32 s2, s[0:1], 0x8
	v_lshlrev_b32_e32 v17, 2, v0
	s_delay_alu instid0(VALU_DEP_1)
	v_or_b32_e32 v9, 1, v17
	v_or_b32_e32 v5, 2, v17
	;; [unrolled: 1-line block ×3, first 2 shown]
	s_waitcnt lgkmcnt(0)
	s_cmp_eq_u32 s2, 0
	s_cbranch_scc1 .LBB73_3
; %bb.1:
	v_dual_mov_b32 v2, 0 :: v_dual_mov_b32 v3, 0
	v_dual_mov_b32 v15, 0 :: v_dual_lshlrev_b32 v0, 6, v0
	v_mbcnt_lo_u32_b32 v7, -1, 0
	s_delay_alu instid0(VALU_DEP_3) | instskip(SKIP_1) | instid1(VALU_DEP_4)
	v_mov_b32_e32 v18, v2
	v_dual_mov_b32 v4, 0 :: v_dual_mov_b32 v13, v17
	v_and_b32_e32 v8, 0x3800, v0
	v_mov_b32_e32 v16, 0
	v_mov_b32_e32 v6, v2
	s_delay_alu instid0(VALU_DEP_4) | instskip(NEXT) | instid1(VALU_DEP_4)
	v_dual_mov_b32 v12, v4 :: v_dual_mov_b32 v11, v3
	v_lshl_or_b32 v0, v7, 4, v8
	v_lshl_or_b32 v19, v7, 6, v8
	v_dual_mov_b32 v8, v4 :: v_dual_mov_b32 v7, v3
	v_mov_b32_e32 v10, v2
	v_mov_b32_e32 v14, v18
	.p2align	6
.LBB73_2:                               ; =>This Inner Loop Header: Depth=1
	s_waitcnt lgkmcnt(3)
	ds_store_b128 v0, v[13:16]
	s_waitcnt lgkmcnt(3)
	ds_store_b128 v0, v[9:12] offset:512
	s_waitcnt lgkmcnt(3)
	ds_store_b128 v0, v[5:8] offset:1024
	;; [unrolled: 2-line block ×3, first 2 shown]
	; wave barrier
	ds_load_b128 v[13:16], v19
	ds_load_b128 v[9:12], v19 offset:16
	ds_load_b128 v[5:8], v19 offset:32
	;; [unrolled: 1-line block ×3, first 2 shown]
	s_add_i32 s2, s2, -1
	s_delay_alu instid0(SALU_CYCLE_1)
	s_cmp_lg_u32 s2, 0
	; wave barrier
	s_cbranch_scc1 .LBB73_2
	s_branch .LBB73_4
.LBB73_3:
	v_dual_mov_b32 v18, 0 :: v_dual_mov_b32 v15, 0
	v_dual_mov_b32 v16, 0 :: v_dual_mov_b32 v3, 0
	;; [unrolled: 1-line block ×3, first 2 shown]
	s_delay_alu instid0(VALU_DEP_3)
	v_dual_mov_b32 v10, v18 :: v_dual_mov_b32 v11, v15
	v_dual_mov_b32 v6, v18 :: v_dual_mov_b32 v7, v15
	v_mov_b32_e32 v2, v18
	v_mov_b32_e32 v14, v18
	;; [unrolled: 1-line block ×4, first 2 shown]
.LBB73_4:
	s_load_b64 s[0:1], s[0:1], 0x0
	v_lshl_or_b32 v17, s15, 10, v17
	v_mov_b32_e32 v18, 0
	s_delay_alu instid0(VALU_DEP_1) | instskip(SKIP_1) | instid1(VALU_DEP_1)
	v_lshlrev_b64 v[17:18], 4, v[17:18]
	s_waitcnt lgkmcnt(0)
	v_add_co_u32 v17, vcc_lo, s0, v17
	s_delay_alu instid0(VALU_DEP_2)
	v_add_co_ci_u32_e32 v18, vcc_lo, s1, v18, vcc_lo
	s_clause 0x3
	global_store_b128 v[17:18], v[13:16], off
	global_store_b128 v[17:18], v[9:12], off offset:16
	global_store_b128 v[17:18], v[5:8], off offset:32
	;; [unrolled: 1-line block ×3, first 2 shown]
	s_nop 0
	s_sendmsg sendmsg(MSG_DEALLOC_VGPRS)
	s_endpgm
	.section	.rodata,"a",@progbits
	.p2align	6, 0x0
	.amdhsa_kernel _Z20warp_exchange_kernelILj256ELj4ELj32EN6common18StripedToBlockedOpEoEvPT3_j
		.amdhsa_group_segment_fixed_size 16384
		.amdhsa_private_segment_fixed_size 0
		.amdhsa_kernarg_size 12
		.amdhsa_user_sgpr_count 15
		.amdhsa_user_sgpr_dispatch_ptr 0
		.amdhsa_user_sgpr_queue_ptr 0
		.amdhsa_user_sgpr_kernarg_segment_ptr 1
		.amdhsa_user_sgpr_dispatch_id 0
		.amdhsa_user_sgpr_private_segment_size 0
		.amdhsa_wavefront_size32 1
		.amdhsa_uses_dynamic_stack 0
		.amdhsa_enable_private_segment 0
		.amdhsa_system_sgpr_workgroup_id_x 1
		.amdhsa_system_sgpr_workgroup_id_y 0
		.amdhsa_system_sgpr_workgroup_id_z 0
		.amdhsa_system_sgpr_workgroup_info 0
		.amdhsa_system_vgpr_workitem_id 0
		.amdhsa_next_free_vgpr 20
		.amdhsa_next_free_sgpr 16
		.amdhsa_reserve_vcc 1
		.amdhsa_float_round_mode_32 0
		.amdhsa_float_round_mode_16_64 0
		.amdhsa_float_denorm_mode_32 3
		.amdhsa_float_denorm_mode_16_64 3
		.amdhsa_dx10_clamp 1
		.amdhsa_ieee_mode 1
		.amdhsa_fp16_overflow 0
		.amdhsa_workgroup_processor_mode 1
		.amdhsa_memory_ordered 1
		.amdhsa_forward_progress 0
		.amdhsa_shared_vgpr_count 0
		.amdhsa_exception_fp_ieee_invalid_op 0
		.amdhsa_exception_fp_denorm_src 0
		.amdhsa_exception_fp_ieee_div_zero 0
		.amdhsa_exception_fp_ieee_overflow 0
		.amdhsa_exception_fp_ieee_underflow 0
		.amdhsa_exception_fp_ieee_inexact 0
		.amdhsa_exception_int_div_zero 0
	.end_amdhsa_kernel
	.section	.text._Z20warp_exchange_kernelILj256ELj4ELj32EN6common18StripedToBlockedOpEoEvPT3_j,"axG",@progbits,_Z20warp_exchange_kernelILj256ELj4ELj32EN6common18StripedToBlockedOpEoEvPT3_j,comdat
.Lfunc_end73:
	.size	_Z20warp_exchange_kernelILj256ELj4ELj32EN6common18StripedToBlockedOpEoEvPT3_j, .Lfunc_end73-_Z20warp_exchange_kernelILj256ELj4ELj32EN6common18StripedToBlockedOpEoEvPT3_j
                                        ; -- End function
	.section	.AMDGPU.csdata,"",@progbits
; Kernel info:
; codeLenInByte = 400
; NumSgprs: 18
; NumVgprs: 20
; ScratchSize: 0
; MemoryBound: 0
; FloatMode: 240
; IeeeMode: 1
; LDSByteSize: 16384 bytes/workgroup (compile time only)
; SGPRBlocks: 2
; VGPRBlocks: 2
; NumSGPRsForWavesPerEU: 18
; NumVGPRsForWavesPerEU: 20
; Occupancy: 16
; WaveLimiterHint : 0
; COMPUTE_PGM_RSRC2:SCRATCH_EN: 0
; COMPUTE_PGM_RSRC2:USER_SGPR: 15
; COMPUTE_PGM_RSRC2:TRAP_HANDLER: 0
; COMPUTE_PGM_RSRC2:TGID_X_EN: 1
; COMPUTE_PGM_RSRC2:TGID_Y_EN: 0
; COMPUTE_PGM_RSRC2:TGID_Z_EN: 0
; COMPUTE_PGM_RSRC2:TIDIG_COMP_CNT: 0
	.section	.text._Z20warp_exchange_kernelILj256ELj16ELj16EN6common18StripedToBlockedOpEoEvPT3_j,"axG",@progbits,_Z20warp_exchange_kernelILj256ELj16ELj16EN6common18StripedToBlockedOpEoEvPT3_j,comdat
	.protected	_Z20warp_exchange_kernelILj256ELj16ELj16EN6common18StripedToBlockedOpEoEvPT3_j ; -- Begin function _Z20warp_exchange_kernelILj256ELj16ELj16EN6common18StripedToBlockedOpEoEvPT3_j
	.globl	_Z20warp_exchange_kernelILj256ELj16ELj16EN6common18StripedToBlockedOpEoEvPT3_j
	.p2align	8
	.type	_Z20warp_exchange_kernelILj256ELj16ELj16EN6common18StripedToBlockedOpEoEvPT3_j,@function
_Z20warp_exchange_kernelILj256ELj16ELj16EN6common18StripedToBlockedOpEoEvPT3_j: ; @_Z20warp_exchange_kernelILj256ELj16ELj16EN6common18StripedToBlockedOpEoEvPT3_j
; %bb.0:
	s_load_b32 s2, s[0:1], 0x8
	v_lshlrev_b32_e32 v65, 4, v0
	s_delay_alu instid0(VALU_DEP_1)
	v_or_b32_e32 v57, 1, v65
	v_or_b32_e32 v45, 2, v65
	v_or_b32_e32 v33, 3, v65
	v_or_b32_e32 v53, 4, v65
	v_or_b32_e32 v49, 5, v65
	v_or_b32_e32 v41, 6, v65
	v_or_b32_e32 v37, 7, v65
	v_or_b32_e32 v29, 8, v65
	v_or_b32_e32 v25, 9, v65
	v_or_b32_e32 v21, 10, v65
	v_or_b32_e32 v17, 11, v65
	v_or_b32_e32 v13, 12, v65
	v_or_b32_e32 v9, 13, v65
	v_or_b32_e32 v5, 14, v65
	v_or_b32_e32 v1, 15, v65
	s_waitcnt lgkmcnt(0)
	s_cmp_eq_u32 s2, 0
	s_cbranch_scc1 .LBB74_3
; %bb.1:
	v_mbcnt_lo_u32_b32 v7, -1, 0
	v_dual_mov_b32 v2, 0 :: v_dual_mov_b32 v63, 0
	v_dual_mov_b32 v64, 0 :: v_dual_mov_b32 v3, 0
	s_delay_alu instid0(VALU_DEP_3) | instskip(SKIP_1) | instid1(VALU_DEP_4)
	v_dual_mov_b32 v4, 0 :: v_dual_and_b32 v7, 15, v7
	v_lshlrev_b32_e32 v0, 8, v0
	v_mov_b32_e32 v66, v2
	v_dual_mov_b32 v58, v2 :: v_dual_mov_b32 v61, v65
	s_delay_alu instid0(VALU_DEP_4)
	v_lshlrev_b32_e32 v8, 4, v7
	v_mov_b32_e32 v32, v4
	v_dual_mov_b32 v40, v4 :: v_dual_mov_b32 v39, v3
	v_mul_u32_u24_e32 v7, 0xf0, v7
	v_mov_b32_e32 v31, v3
	v_and_or_b32 v0, 0xf000, v0, v8
	v_mov_b32_e32 v6, v2
	v_mov_b32_e32 v12, v4
	;; [unrolled: 1-line block ×4, first 2 shown]
	v_add_nc_u32_e32 v67, v0, v7
	v_mov_b32_e32 v8, v4
	v_mov_b32_e32 v24, v4
	;; [unrolled: 1-line block ×9, first 2 shown]
	v_dual_mov_b32 v10, v2 :: v_dual_mov_b32 v7, v3
	v_dual_mov_b32 v14, v2 :: v_dual_mov_b32 v11, v3
	;; [unrolled: 1-line block ×12, first 2 shown]
	v_mov_b32_e32 v62, v66
.LBB74_2:                               ; =>This Inner Loop Header: Depth=1
	s_waitcnt lgkmcnt(15)
	ds_store_b128 v0, v[61:64]
	s_waitcnt lgkmcnt(15)
	ds_store_b128 v0, v[57:60] offset:256
	s_waitcnt lgkmcnt(15)
	ds_store_b128 v0, v[45:48] offset:512
	;; [unrolled: 2-line block ×15, first 2 shown]
	; wave barrier
	ds_load_b128 v[61:64], v67
	ds_load_b128 v[57:60], v67 offset:16
	ds_load_b128 v[45:48], v67 offset:32
	;; [unrolled: 1-line block ×15, first 2 shown]
	s_add_i32 s2, s2, -1
	s_delay_alu instid0(SALU_CYCLE_1)
	s_cmp_lg_u32 s2, 0
	; wave barrier
	s_cbranch_scc1 .LBB74_2
	s_branch .LBB74_4
.LBB74_3:
	v_dual_mov_b32 v66, 0 :: v_dual_mov_b32 v3, 0
	v_dual_mov_b32 v4, 0 :: v_dual_mov_b32 v63, 0
	;; [unrolled: 1-line block ×3, first 2 shown]
	s_delay_alu instid0(VALU_DEP_2)
	v_dual_mov_b32 v58, v66 :: v_dual_mov_b32 v59, v63
	v_dual_mov_b32 v46, v66 :: v_dual_mov_b32 v47, v63
	v_dual_mov_b32 v34, v66 :: v_dual_mov_b32 v35, v63
	v_dual_mov_b32 v54, v66 :: v_dual_mov_b32 v55, v63
	v_dual_mov_b32 v50, v66 :: v_dual_mov_b32 v51, v63
	v_dual_mov_b32 v42, v66 :: v_dual_mov_b32 v43, v63
	v_dual_mov_b32 v38, v66 :: v_dual_mov_b32 v39, v63
	v_dual_mov_b32 v30, v66 :: v_dual_mov_b32 v31, v63
	v_dual_mov_b32 v26, v66 :: v_dual_mov_b32 v27, v63
	v_dual_mov_b32 v22, v66 :: v_dual_mov_b32 v23, v63
	v_dual_mov_b32 v18, v66 :: v_dual_mov_b32 v19, v63
	v_dual_mov_b32 v14, v66 :: v_dual_mov_b32 v15, v63
	v_dual_mov_b32 v10, v66 :: v_dual_mov_b32 v11, v63
	v_dual_mov_b32 v6, v66 :: v_dual_mov_b32 v7, v63
	v_mov_b32_e32 v2, v66
	v_mov_b32_e32 v62, v66
	;; [unrolled: 1-line block ×16, first 2 shown]
.LBB74_4:
	s_load_b64 s[0:1], s[0:1], 0x0
	v_lshl_or_b32 v65, s15, 12, v65
	v_mov_b32_e32 v66, 0
	s_delay_alu instid0(VALU_DEP_1) | instskip(SKIP_1) | instid1(VALU_DEP_1)
	v_lshlrev_b64 v[65:66], 4, v[65:66]
	s_waitcnt lgkmcnt(0)
	v_add_co_u32 v65, vcc_lo, s0, v65
	s_delay_alu instid0(VALU_DEP_2)
	v_add_co_ci_u32_e32 v66, vcc_lo, s1, v66, vcc_lo
	s_clause 0xf
	global_store_b128 v[65:66], v[61:64], off
	global_store_b128 v[65:66], v[57:60], off offset:16
	global_store_b128 v[65:66], v[45:48], off offset:32
	;; [unrolled: 1-line block ×15, first 2 shown]
	s_nop 0
	s_sendmsg sendmsg(MSG_DEALLOC_VGPRS)
	s_endpgm
	.section	.rodata,"a",@progbits
	.p2align	6, 0x0
	.amdhsa_kernel _Z20warp_exchange_kernelILj256ELj16ELj16EN6common18StripedToBlockedOpEoEvPT3_j
		.amdhsa_group_segment_fixed_size 65536
		.amdhsa_private_segment_fixed_size 0
		.amdhsa_kernarg_size 12
		.amdhsa_user_sgpr_count 15
		.amdhsa_user_sgpr_dispatch_ptr 0
		.amdhsa_user_sgpr_queue_ptr 0
		.amdhsa_user_sgpr_kernarg_segment_ptr 1
		.amdhsa_user_sgpr_dispatch_id 0
		.amdhsa_user_sgpr_private_segment_size 0
		.amdhsa_wavefront_size32 1
		.amdhsa_uses_dynamic_stack 0
		.amdhsa_enable_private_segment 0
		.amdhsa_system_sgpr_workgroup_id_x 1
		.amdhsa_system_sgpr_workgroup_id_y 0
		.amdhsa_system_sgpr_workgroup_id_z 0
		.amdhsa_system_sgpr_workgroup_info 0
		.amdhsa_system_vgpr_workitem_id 0
		.amdhsa_next_free_vgpr 68
		.amdhsa_next_free_sgpr 16
		.amdhsa_reserve_vcc 1
		.amdhsa_float_round_mode_32 0
		.amdhsa_float_round_mode_16_64 0
		.amdhsa_float_denorm_mode_32 3
		.amdhsa_float_denorm_mode_16_64 3
		.amdhsa_dx10_clamp 1
		.amdhsa_ieee_mode 1
		.amdhsa_fp16_overflow 0
		.amdhsa_workgroup_processor_mode 1
		.amdhsa_memory_ordered 1
		.amdhsa_forward_progress 0
		.amdhsa_shared_vgpr_count 0
		.amdhsa_exception_fp_ieee_invalid_op 0
		.amdhsa_exception_fp_denorm_src 0
		.amdhsa_exception_fp_ieee_div_zero 0
		.amdhsa_exception_fp_ieee_overflow 0
		.amdhsa_exception_fp_ieee_underflow 0
		.amdhsa_exception_fp_ieee_inexact 0
		.amdhsa_exception_int_div_zero 0
	.end_amdhsa_kernel
	.section	.text._Z20warp_exchange_kernelILj256ELj16ELj16EN6common18StripedToBlockedOpEoEvPT3_j,"axG",@progbits,_Z20warp_exchange_kernelILj256ELj16ELj16EN6common18StripedToBlockedOpEoEvPT3_j,comdat
.Lfunc_end74:
	.size	_Z20warp_exchange_kernelILj256ELj16ELj16EN6common18StripedToBlockedOpEoEvPT3_j, .Lfunc_end74-_Z20warp_exchange_kernelILj256ELj16ELj16EN6common18StripedToBlockedOpEoEvPT3_j
                                        ; -- End function
	.section	.AMDGPU.csdata,"",@progbits
; Kernel info:
; codeLenInByte = 1080
; NumSgprs: 18
; NumVgprs: 68
; ScratchSize: 0
; MemoryBound: 1
; FloatMode: 240
; IeeeMode: 1
; LDSByteSize: 65536 bytes/workgroup (compile time only)
; SGPRBlocks: 2
; VGPRBlocks: 8
; NumSGPRsForWavesPerEU: 18
; NumVGPRsForWavesPerEU: 68
; Occupancy: 4
; WaveLimiterHint : 1
; COMPUTE_PGM_RSRC2:SCRATCH_EN: 0
; COMPUTE_PGM_RSRC2:USER_SGPR: 15
; COMPUTE_PGM_RSRC2:TRAP_HANDLER: 0
; COMPUTE_PGM_RSRC2:TGID_X_EN: 1
; COMPUTE_PGM_RSRC2:TGID_Y_EN: 0
; COMPUTE_PGM_RSRC2:TGID_Z_EN: 0
; COMPUTE_PGM_RSRC2:TIDIG_COMP_CNT: 0
	.section	.text._Z20warp_exchange_kernelILj256ELj16ELj32EN6common18StripedToBlockedOpEoEvPT3_j,"axG",@progbits,_Z20warp_exchange_kernelILj256ELj16ELj32EN6common18StripedToBlockedOpEoEvPT3_j,comdat
	.protected	_Z20warp_exchange_kernelILj256ELj16ELj32EN6common18StripedToBlockedOpEoEvPT3_j ; -- Begin function _Z20warp_exchange_kernelILj256ELj16ELj32EN6common18StripedToBlockedOpEoEvPT3_j
	.globl	_Z20warp_exchange_kernelILj256ELj16ELj32EN6common18StripedToBlockedOpEoEvPT3_j
	.p2align	8
	.type	_Z20warp_exchange_kernelILj256ELj16ELj32EN6common18StripedToBlockedOpEoEvPT3_j,@function
_Z20warp_exchange_kernelILj256ELj16ELj32EN6common18StripedToBlockedOpEoEvPT3_j: ; @_Z20warp_exchange_kernelILj256ELj16ELj32EN6common18StripedToBlockedOpEoEvPT3_j
; %bb.0:
	s_load_b32 s2, s[0:1], 0x8
	v_lshlrev_b32_e32 v65, 4, v0
	s_delay_alu instid0(VALU_DEP_1)
	v_or_b32_e32 v57, 1, v65
	v_or_b32_e32 v45, 2, v65
	;; [unrolled: 1-line block ×15, first 2 shown]
	s_waitcnt lgkmcnt(0)
	s_cmp_eq_u32 s2, 0
	s_cbranch_scc1 .LBB75_3
; %bb.1:
	v_lshlrev_b32_e32 v0, 8, v0
	v_dual_mov_b32 v2, 0 :: v_dual_mov_b32 v63, 0
	v_dual_mov_b32 v64, 0 :: v_dual_mov_b32 v3, 0
	s_delay_alu instid0(VALU_DEP_3) | instskip(SKIP_1) | instid1(VALU_DEP_4)
	v_dual_mov_b32 v4, 0 :: v_dual_and_b32 v7, 0xe000, v0
	v_mbcnt_lo_u32_b32 v8, -1, 0
	v_mov_b32_e32 v66, v2
	v_dual_mov_b32 v58, v2 :: v_dual_mov_b32 v61, v65
	s_delay_alu instid0(VALU_DEP_4) | instskip(NEXT) | instid1(VALU_DEP_4)
	v_mov_b32_e32 v12, v4
	v_lshl_or_b32 v0, v8, 4, v7
	v_lshl_or_b32 v67, v8, 8, v7
	v_mov_b32_e32 v8, v4
	v_mov_b32_e32 v16, v4
	;; [unrolled: 1-line block ×13, first 2 shown]
	v_dual_mov_b32 v6, v2 :: v_dual_mov_b32 v7, v3
	v_dual_mov_b32 v10, v2 :: v_dual_mov_b32 v11, v3
	;; [unrolled: 1-line block ×14, first 2 shown]
.LBB75_2:                               ; =>This Inner Loop Header: Depth=1
	s_waitcnt lgkmcnt(15)
	ds_store_b128 v0, v[61:64]
	s_waitcnt lgkmcnt(15)
	ds_store_b128 v0, v[57:60] offset:512
	s_waitcnt lgkmcnt(15)
	ds_store_b128 v0, v[45:48] offset:1024
	;; [unrolled: 2-line block ×15, first 2 shown]
	; wave barrier
	ds_load_b128 v[61:64], v67
	ds_load_b128 v[57:60], v67 offset:16
	ds_load_b128 v[45:48], v67 offset:32
	;; [unrolled: 1-line block ×15, first 2 shown]
	s_add_i32 s2, s2, -1
	s_delay_alu instid0(SALU_CYCLE_1)
	s_cmp_lg_u32 s2, 0
	; wave barrier
	s_cbranch_scc1 .LBB75_2
	s_branch .LBB75_4
.LBB75_3:
	v_dual_mov_b32 v66, 0 :: v_dual_mov_b32 v3, 0
	v_dual_mov_b32 v4, 0 :: v_dual_mov_b32 v63, 0
	;; [unrolled: 1-line block ×3, first 2 shown]
	s_delay_alu instid0(VALU_DEP_2)
	v_dual_mov_b32 v58, v66 :: v_dual_mov_b32 v59, v63
	v_dual_mov_b32 v46, v66 :: v_dual_mov_b32 v47, v63
	;; [unrolled: 1-line block ×14, first 2 shown]
	v_mov_b32_e32 v2, v66
	v_mov_b32_e32 v62, v66
	;; [unrolled: 1-line block ×16, first 2 shown]
.LBB75_4:
	s_load_b64 s[0:1], s[0:1], 0x0
	v_lshl_or_b32 v65, s15, 12, v65
	v_mov_b32_e32 v66, 0
	s_delay_alu instid0(VALU_DEP_1) | instskip(SKIP_1) | instid1(VALU_DEP_1)
	v_lshlrev_b64 v[65:66], 4, v[65:66]
	s_waitcnt lgkmcnt(0)
	v_add_co_u32 v65, vcc_lo, s0, v65
	s_delay_alu instid0(VALU_DEP_2)
	v_add_co_ci_u32_e32 v66, vcc_lo, s1, v66, vcc_lo
	s_clause 0xf
	global_store_b128 v[65:66], v[61:64], off
	global_store_b128 v[65:66], v[57:60], off offset:16
	global_store_b128 v[65:66], v[45:48], off offset:32
	global_store_b128 v[65:66], v[33:36], off offset:48
	global_store_b128 v[65:66], v[53:56], off offset:64
	global_store_b128 v[65:66], v[49:52], off offset:80
	global_store_b128 v[65:66], v[41:44], off offset:96
	global_store_b128 v[65:66], v[37:40], off offset:112
	global_store_b128 v[65:66], v[29:32], off offset:128
	global_store_b128 v[65:66], v[25:28], off offset:144
	global_store_b128 v[65:66], v[21:24], off offset:160
	global_store_b128 v[65:66], v[17:20], off offset:176
	global_store_b128 v[65:66], v[13:16], off offset:192
	global_store_b128 v[65:66], v[9:12], off offset:208
	global_store_b128 v[65:66], v[5:8], off offset:224
	global_store_b128 v[65:66], v[1:4], off offset:240
	s_nop 0
	s_sendmsg sendmsg(MSG_DEALLOC_VGPRS)
	s_endpgm
	.section	.rodata,"a",@progbits
	.p2align	6, 0x0
	.amdhsa_kernel _Z20warp_exchange_kernelILj256ELj16ELj32EN6common18StripedToBlockedOpEoEvPT3_j
		.amdhsa_group_segment_fixed_size 65536
		.amdhsa_private_segment_fixed_size 0
		.amdhsa_kernarg_size 12
		.amdhsa_user_sgpr_count 15
		.amdhsa_user_sgpr_dispatch_ptr 0
		.amdhsa_user_sgpr_queue_ptr 0
		.amdhsa_user_sgpr_kernarg_segment_ptr 1
		.amdhsa_user_sgpr_dispatch_id 0
		.amdhsa_user_sgpr_private_segment_size 0
		.amdhsa_wavefront_size32 1
		.amdhsa_uses_dynamic_stack 0
		.amdhsa_enable_private_segment 0
		.amdhsa_system_sgpr_workgroup_id_x 1
		.amdhsa_system_sgpr_workgroup_id_y 0
		.amdhsa_system_sgpr_workgroup_id_z 0
		.amdhsa_system_sgpr_workgroup_info 0
		.amdhsa_system_vgpr_workitem_id 0
		.amdhsa_next_free_vgpr 68
		.amdhsa_next_free_sgpr 16
		.amdhsa_reserve_vcc 1
		.amdhsa_float_round_mode_32 0
		.amdhsa_float_round_mode_16_64 0
		.amdhsa_float_denorm_mode_32 3
		.amdhsa_float_denorm_mode_16_64 3
		.amdhsa_dx10_clamp 1
		.amdhsa_ieee_mode 1
		.amdhsa_fp16_overflow 0
		.amdhsa_workgroup_processor_mode 1
		.amdhsa_memory_ordered 1
		.amdhsa_forward_progress 0
		.amdhsa_shared_vgpr_count 0
		.amdhsa_exception_fp_ieee_invalid_op 0
		.amdhsa_exception_fp_denorm_src 0
		.amdhsa_exception_fp_ieee_div_zero 0
		.amdhsa_exception_fp_ieee_overflow 0
		.amdhsa_exception_fp_ieee_underflow 0
		.amdhsa_exception_fp_ieee_inexact 0
		.amdhsa_exception_int_div_zero 0
	.end_amdhsa_kernel
	.section	.text._Z20warp_exchange_kernelILj256ELj16ELj32EN6common18StripedToBlockedOpEoEvPT3_j,"axG",@progbits,_Z20warp_exchange_kernelILj256ELj16ELj32EN6common18StripedToBlockedOpEoEvPT3_j,comdat
.Lfunc_end75:
	.size	_Z20warp_exchange_kernelILj256ELj16ELj32EN6common18StripedToBlockedOpEoEvPT3_j, .Lfunc_end75-_Z20warp_exchange_kernelILj256ELj16ELj32EN6common18StripedToBlockedOpEoEvPT3_j
                                        ; -- End function
	.section	.AMDGPU.csdata,"",@progbits
; Kernel info:
; codeLenInByte = 1072
; NumSgprs: 18
; NumVgprs: 68
; ScratchSize: 0
; MemoryBound: 1
; FloatMode: 240
; IeeeMode: 1
; LDSByteSize: 65536 bytes/workgroup (compile time only)
; SGPRBlocks: 2
; VGPRBlocks: 8
; NumSGPRsForWavesPerEU: 18
; NumVGPRsForWavesPerEU: 68
; Occupancy: 4
; WaveLimiterHint : 1
; COMPUTE_PGM_RSRC2:SCRATCH_EN: 0
; COMPUTE_PGM_RSRC2:USER_SGPR: 15
; COMPUTE_PGM_RSRC2:TRAP_HANDLER: 0
; COMPUTE_PGM_RSRC2:TGID_X_EN: 1
; COMPUTE_PGM_RSRC2:TGID_Y_EN: 0
; COMPUTE_PGM_RSRC2:TGID_Z_EN: 0
; COMPUTE_PGM_RSRC2:TIDIG_COMP_CNT: 0
	.section	.text._Z20warp_exchange_kernelILj256ELj1ELj16EN6common25BlockedToStripedShuffleOpEoEvPT3_j,"axG",@progbits,_Z20warp_exchange_kernelILj256ELj1ELj16EN6common25BlockedToStripedShuffleOpEoEvPT3_j,comdat
	.protected	_Z20warp_exchange_kernelILj256ELj1ELj16EN6common25BlockedToStripedShuffleOpEoEvPT3_j ; -- Begin function _Z20warp_exchange_kernelILj256ELj1ELj16EN6common25BlockedToStripedShuffleOpEoEvPT3_j
	.globl	_Z20warp_exchange_kernelILj256ELj1ELj16EN6common25BlockedToStripedShuffleOpEoEvPT3_j
	.p2align	8
	.type	_Z20warp_exchange_kernelILj256ELj1ELj16EN6common25BlockedToStripedShuffleOpEoEvPT3_j,@function
_Z20warp_exchange_kernelILj256ELj1ELj16EN6common25BlockedToStripedShuffleOpEoEvPT3_j: ; @_Z20warp_exchange_kernelILj256ELj1ELj16EN6common25BlockedToStripedShuffleOpEoEvPT3_j
; %bb.0:
	s_load_b32 s2, s[0:1], 0x8
	s_waitcnt lgkmcnt(0)
	s_cmp_eq_u32 s2, 0
	s_cbranch_scc1 .LBB76_3
; %bb.1:
	v_mbcnt_lo_u32_b32 v3, -1, 0
	v_dual_mov_b32 v4, 0 :: v_dual_mov_b32 v1, v0
	s_delay_alu instid0(VALU_DEP_2)
	v_dual_mov_b32 v2, 0 :: v_dual_lshlrev_b32 v5, 2, v3
	v_mov_b32_e32 v3, 0
.LBB76_2:                               ; =>This Inner Loop Header: Depth=1
	s_waitcnt lgkmcnt(3)
	ds_bpermute_b32 v1, v5, v1
	s_waitcnt lgkmcnt(3)
	ds_bpermute_b32 v2, v5, v2
	;; [unrolled: 2-line block ×4, first 2 shown]
	s_add_i32 s2, s2, -1
	s_delay_alu instid0(SALU_CYCLE_1)
	s_cmp_lg_u32 s2, 0
	; wave barrier
	s_cbranch_scc1 .LBB76_2
	s_branch .LBB76_4
.LBB76_3:
	v_dual_mov_b32 v4, 0 :: v_dual_mov_b32 v1, v0
	v_dual_mov_b32 v2, 0 :: v_dual_mov_b32 v3, 0
.LBB76_4:
	s_load_b64 s[0:1], s[0:1], 0x0
	v_lshl_or_b32 v5, s15, 8, v0
	v_mov_b32_e32 v6, 0
	s_delay_alu instid0(VALU_DEP_1) | instskip(SKIP_1) | instid1(VALU_DEP_1)
	v_lshlrev_b64 v[5:6], 4, v[5:6]
	s_waitcnt lgkmcnt(0)
	v_add_co_u32 v5, vcc_lo, s0, v5
	s_delay_alu instid0(VALU_DEP_2)
	v_add_co_ci_u32_e32 v6, vcc_lo, s1, v6, vcc_lo
	global_store_b128 v[5:6], v[1:4], off
	s_nop 0
	s_sendmsg sendmsg(MSG_DEALLOC_VGPRS)
	s_endpgm
	.section	.rodata,"a",@progbits
	.p2align	6, 0x0
	.amdhsa_kernel _Z20warp_exchange_kernelILj256ELj1ELj16EN6common25BlockedToStripedShuffleOpEoEvPT3_j
		.amdhsa_group_segment_fixed_size 0
		.amdhsa_private_segment_fixed_size 0
		.amdhsa_kernarg_size 12
		.amdhsa_user_sgpr_count 15
		.amdhsa_user_sgpr_dispatch_ptr 0
		.amdhsa_user_sgpr_queue_ptr 0
		.amdhsa_user_sgpr_kernarg_segment_ptr 1
		.amdhsa_user_sgpr_dispatch_id 0
		.amdhsa_user_sgpr_private_segment_size 0
		.amdhsa_wavefront_size32 1
		.amdhsa_uses_dynamic_stack 0
		.amdhsa_enable_private_segment 0
		.amdhsa_system_sgpr_workgroup_id_x 1
		.amdhsa_system_sgpr_workgroup_id_y 0
		.amdhsa_system_sgpr_workgroup_id_z 0
		.amdhsa_system_sgpr_workgroup_info 0
		.amdhsa_system_vgpr_workitem_id 0
		.amdhsa_next_free_vgpr 7
		.amdhsa_next_free_sgpr 16
		.amdhsa_reserve_vcc 1
		.amdhsa_float_round_mode_32 0
		.amdhsa_float_round_mode_16_64 0
		.amdhsa_float_denorm_mode_32 3
		.amdhsa_float_denorm_mode_16_64 3
		.amdhsa_dx10_clamp 1
		.amdhsa_ieee_mode 1
		.amdhsa_fp16_overflow 0
		.amdhsa_workgroup_processor_mode 1
		.amdhsa_memory_ordered 1
		.amdhsa_forward_progress 0
		.amdhsa_shared_vgpr_count 0
		.amdhsa_exception_fp_ieee_invalid_op 0
		.amdhsa_exception_fp_denorm_src 0
		.amdhsa_exception_fp_ieee_div_zero 0
		.amdhsa_exception_fp_ieee_overflow 0
		.amdhsa_exception_fp_ieee_underflow 0
		.amdhsa_exception_fp_ieee_inexact 0
		.amdhsa_exception_int_div_zero 0
	.end_amdhsa_kernel
	.section	.text._Z20warp_exchange_kernelILj256ELj1ELj16EN6common25BlockedToStripedShuffleOpEoEvPT3_j,"axG",@progbits,_Z20warp_exchange_kernelILj256ELj1ELj16EN6common25BlockedToStripedShuffleOpEoEvPT3_j,comdat
.Lfunc_end76:
	.size	_Z20warp_exchange_kernelILj256ELj1ELj16EN6common25BlockedToStripedShuffleOpEoEvPT3_j, .Lfunc_end76-_Z20warp_exchange_kernelILj256ELj1ELj16EN6common25BlockedToStripedShuffleOpEoEvPT3_j
                                        ; -- End function
	.section	.AMDGPU.csdata,"",@progbits
; Kernel info:
; codeLenInByte = 208
; NumSgprs: 18
; NumVgprs: 7
; ScratchSize: 0
; MemoryBound: 0
; FloatMode: 240
; IeeeMode: 1
; LDSByteSize: 0 bytes/workgroup (compile time only)
; SGPRBlocks: 2
; VGPRBlocks: 0
; NumSGPRsForWavesPerEU: 18
; NumVGPRsForWavesPerEU: 7
; Occupancy: 16
; WaveLimiterHint : 0
; COMPUTE_PGM_RSRC2:SCRATCH_EN: 0
; COMPUTE_PGM_RSRC2:USER_SGPR: 15
; COMPUTE_PGM_RSRC2:TRAP_HANDLER: 0
; COMPUTE_PGM_RSRC2:TGID_X_EN: 1
; COMPUTE_PGM_RSRC2:TGID_Y_EN: 0
; COMPUTE_PGM_RSRC2:TGID_Z_EN: 0
; COMPUTE_PGM_RSRC2:TIDIG_COMP_CNT: 0
	.section	.text._Z20warp_exchange_kernelILj256ELj1ELj32EN6common25BlockedToStripedShuffleOpEoEvPT3_j,"axG",@progbits,_Z20warp_exchange_kernelILj256ELj1ELj32EN6common25BlockedToStripedShuffleOpEoEvPT3_j,comdat
	.protected	_Z20warp_exchange_kernelILj256ELj1ELj32EN6common25BlockedToStripedShuffleOpEoEvPT3_j ; -- Begin function _Z20warp_exchange_kernelILj256ELj1ELj32EN6common25BlockedToStripedShuffleOpEoEvPT3_j
	.globl	_Z20warp_exchange_kernelILj256ELj1ELj32EN6common25BlockedToStripedShuffleOpEoEvPT3_j
	.p2align	8
	.type	_Z20warp_exchange_kernelILj256ELj1ELj32EN6common25BlockedToStripedShuffleOpEoEvPT3_j,@function
_Z20warp_exchange_kernelILj256ELj1ELj32EN6common25BlockedToStripedShuffleOpEoEvPT3_j: ; @_Z20warp_exchange_kernelILj256ELj1ELj32EN6common25BlockedToStripedShuffleOpEoEvPT3_j
; %bb.0:
	s_load_b32 s2, s[0:1], 0x8
	s_waitcnt lgkmcnt(0)
	s_cmp_eq_u32 s2, 0
	s_cbranch_scc1 .LBB77_3
; %bb.1:
	v_mbcnt_lo_u32_b32 v3, -1, 0
	v_dual_mov_b32 v4, 0 :: v_dual_mov_b32 v1, v0
	s_delay_alu instid0(VALU_DEP_2)
	v_dual_mov_b32 v2, 0 :: v_dual_lshlrev_b32 v5, 2, v3
	v_mov_b32_e32 v3, 0
.LBB77_2:                               ; =>This Inner Loop Header: Depth=1
	s_waitcnt lgkmcnt(3)
	ds_bpermute_b32 v1, v5, v1
	s_waitcnt lgkmcnt(3)
	ds_bpermute_b32 v2, v5, v2
	;; [unrolled: 2-line block ×4, first 2 shown]
	s_add_i32 s2, s2, -1
	s_delay_alu instid0(SALU_CYCLE_1)
	s_cmp_lg_u32 s2, 0
	; wave barrier
	s_cbranch_scc1 .LBB77_2
	s_branch .LBB77_4
.LBB77_3:
	v_dual_mov_b32 v4, 0 :: v_dual_mov_b32 v1, v0
	v_dual_mov_b32 v2, 0 :: v_dual_mov_b32 v3, 0
.LBB77_4:
	s_load_b64 s[0:1], s[0:1], 0x0
	v_lshl_or_b32 v5, s15, 8, v0
	v_mov_b32_e32 v6, 0
	s_delay_alu instid0(VALU_DEP_1) | instskip(SKIP_1) | instid1(VALU_DEP_1)
	v_lshlrev_b64 v[5:6], 4, v[5:6]
	s_waitcnt lgkmcnt(0)
	v_add_co_u32 v5, vcc_lo, s0, v5
	s_delay_alu instid0(VALU_DEP_2)
	v_add_co_ci_u32_e32 v6, vcc_lo, s1, v6, vcc_lo
	global_store_b128 v[5:6], v[1:4], off
	s_nop 0
	s_sendmsg sendmsg(MSG_DEALLOC_VGPRS)
	s_endpgm
	.section	.rodata,"a",@progbits
	.p2align	6, 0x0
	.amdhsa_kernel _Z20warp_exchange_kernelILj256ELj1ELj32EN6common25BlockedToStripedShuffleOpEoEvPT3_j
		.amdhsa_group_segment_fixed_size 0
		.amdhsa_private_segment_fixed_size 0
		.amdhsa_kernarg_size 12
		.amdhsa_user_sgpr_count 15
		.amdhsa_user_sgpr_dispatch_ptr 0
		.amdhsa_user_sgpr_queue_ptr 0
		.amdhsa_user_sgpr_kernarg_segment_ptr 1
		.amdhsa_user_sgpr_dispatch_id 0
		.amdhsa_user_sgpr_private_segment_size 0
		.amdhsa_wavefront_size32 1
		.amdhsa_uses_dynamic_stack 0
		.amdhsa_enable_private_segment 0
		.amdhsa_system_sgpr_workgroup_id_x 1
		.amdhsa_system_sgpr_workgroup_id_y 0
		.amdhsa_system_sgpr_workgroup_id_z 0
		.amdhsa_system_sgpr_workgroup_info 0
		.amdhsa_system_vgpr_workitem_id 0
		.amdhsa_next_free_vgpr 7
		.amdhsa_next_free_sgpr 16
		.amdhsa_reserve_vcc 1
		.amdhsa_float_round_mode_32 0
		.amdhsa_float_round_mode_16_64 0
		.amdhsa_float_denorm_mode_32 3
		.amdhsa_float_denorm_mode_16_64 3
		.amdhsa_dx10_clamp 1
		.amdhsa_ieee_mode 1
		.amdhsa_fp16_overflow 0
		.amdhsa_workgroup_processor_mode 1
		.amdhsa_memory_ordered 1
		.amdhsa_forward_progress 0
		.amdhsa_shared_vgpr_count 0
		.amdhsa_exception_fp_ieee_invalid_op 0
		.amdhsa_exception_fp_denorm_src 0
		.amdhsa_exception_fp_ieee_div_zero 0
		.amdhsa_exception_fp_ieee_overflow 0
		.amdhsa_exception_fp_ieee_underflow 0
		.amdhsa_exception_fp_ieee_inexact 0
		.amdhsa_exception_int_div_zero 0
	.end_amdhsa_kernel
	.section	.text._Z20warp_exchange_kernelILj256ELj1ELj32EN6common25BlockedToStripedShuffleOpEoEvPT3_j,"axG",@progbits,_Z20warp_exchange_kernelILj256ELj1ELj32EN6common25BlockedToStripedShuffleOpEoEvPT3_j,comdat
.Lfunc_end77:
	.size	_Z20warp_exchange_kernelILj256ELj1ELj32EN6common25BlockedToStripedShuffleOpEoEvPT3_j, .Lfunc_end77-_Z20warp_exchange_kernelILj256ELj1ELj32EN6common25BlockedToStripedShuffleOpEoEvPT3_j
                                        ; -- End function
	.section	.AMDGPU.csdata,"",@progbits
; Kernel info:
; codeLenInByte = 208
; NumSgprs: 18
; NumVgprs: 7
; ScratchSize: 0
; MemoryBound: 0
; FloatMode: 240
; IeeeMode: 1
; LDSByteSize: 0 bytes/workgroup (compile time only)
; SGPRBlocks: 2
; VGPRBlocks: 0
; NumSGPRsForWavesPerEU: 18
; NumVGPRsForWavesPerEU: 7
; Occupancy: 16
; WaveLimiterHint : 0
; COMPUTE_PGM_RSRC2:SCRATCH_EN: 0
; COMPUTE_PGM_RSRC2:USER_SGPR: 15
; COMPUTE_PGM_RSRC2:TRAP_HANDLER: 0
; COMPUTE_PGM_RSRC2:TGID_X_EN: 1
; COMPUTE_PGM_RSRC2:TGID_Y_EN: 0
; COMPUTE_PGM_RSRC2:TGID_Z_EN: 0
; COMPUTE_PGM_RSRC2:TIDIG_COMP_CNT: 0
	.section	.text._Z20warp_exchange_kernelILj256ELj4ELj16EN6common25BlockedToStripedShuffleOpEoEvPT3_j,"axG",@progbits,_Z20warp_exchange_kernelILj256ELj4ELj16EN6common25BlockedToStripedShuffleOpEoEvPT3_j,comdat
	.protected	_Z20warp_exchange_kernelILj256ELj4ELj16EN6common25BlockedToStripedShuffleOpEoEvPT3_j ; -- Begin function _Z20warp_exchange_kernelILj256ELj4ELj16EN6common25BlockedToStripedShuffleOpEoEvPT3_j
	.globl	_Z20warp_exchange_kernelILj256ELj4ELj16EN6common25BlockedToStripedShuffleOpEoEvPT3_j
	.p2align	8
	.type	_Z20warp_exchange_kernelILj256ELj4ELj16EN6common25BlockedToStripedShuffleOpEoEvPT3_j,@function
_Z20warp_exchange_kernelILj256ELj4ELj16EN6common25BlockedToStripedShuffleOpEoEvPT3_j: ; @_Z20warp_exchange_kernelILj256ELj4ELj16EN6common25BlockedToStripedShuffleOpEoEvPT3_j
; %bb.0:
	s_load_b32 s26, s[0:1], 0x8
	v_lshlrev_b32_e32 v16, 2, v0
	s_delay_alu instid0(VALU_DEP_1)
	v_or_b32_e32 v12, 1, v16
	v_or_b32_e32 v8, 2, v16
	;; [unrolled: 1-line block ×3, first 2 shown]
	s_waitcnt lgkmcnt(0)
	s_cmp_eq_u32 s26, 0
	s_cbranch_scc1 .LBB78_4
; %bb.1:
	v_mbcnt_lo_u32_b32 v0, -1, 0
	v_dual_mov_b32 v17, 0 :: v_dual_mov_b32 v2, 0
	s_delay_alu instid0(VALU_DEP_2)
	v_dual_mov_b32 v3, 0 :: v_dual_and_b32 v6, 16, v0
	v_add_nc_u32_e32 v5, -1, v0
	v_add_nc_u32_e32 v7, 12, v0
	v_bfe_u32 v11, v0, 2, 2
	v_add_nc_u32_e32 v10, 4, v0
	v_and_b32_e32 v1, 3, v0
	v_and_b32_e32 v14, 3, v5
	v_lshlrev_b32_e32 v9, 2, v0
	v_lshrrev_b32_e32 v0, 2, v0
	v_cmp_eq_u32_e64 s13, 1, v11
	v_cmp_eq_u32_e64 s14, 2, v11
	v_cmp_eq_u32_e64 s4, 1, v14
	v_cmp_eq_u32_e64 s5, 2, v14
	v_cmp_eq_u32_e64 s6, 3, v14
	v_mov_b32_e32 v14, v17
	v_and_or_b32 v5, v7, 15, v6
	v_xor_b32_e32 v7, 2, v11
	v_and_or_b32 v6, v10, 15, v6
	v_add_nc_u32_e32 v0, -1, v0
	v_cmp_eq_u32_e64 s16, 3, v11
	s_delay_alu instid0(VALU_DEP_4) | instskip(NEXT) | instid1(VALU_DEP_4)
	v_dual_mov_b32 v11, v17 :: v_dual_add_nc_u32 v10, -1, v7
	v_lshlrev_b32_e32 v19, 2, v6
	s_delay_alu instid0(VALU_DEP_4)
	v_and_b32_e32 v0, 3, v0
	v_lshlrev_b32_e32 v5, 2, v5
	v_cmp_eq_u32_e64 s20, 1, v7
	v_and_b32_e32 v6, 3, v10
	v_cmp_eq_u32_e64 s21, 2, v7
	v_cmp_eq_u32_e64 s22, 3, v7
	v_mov_b32_e32 v7, v17
	v_mov_b32_e32 v10, v17
	v_cmp_eq_u32_e64 s23, 1, v6
	v_cmp_eq_u32_e64 s24, 2, v6
	;; [unrolled: 1-line block ×3, first 2 shown]
	v_mov_b32_e32 v6, v17
	v_xor_b32_e32 v13, 2, v1
	v_cmp_eq_u32_e32 vcc_lo, 1, v1
	v_cmp_eq_u32_e64 s2, 2, v1
	v_cmp_eq_u32_e64 s3, 3, v1
	s_delay_alu instid0(VALU_DEP_4)
	v_add_nc_u32_e32 v15, -1, v13
	v_cmp_eq_u32_e64 s7, 1, v13
	v_cmp_eq_u32_e64 s8, 2, v13
	v_cmp_eq_u32_e64 s9, 3, v13
	v_mov_b32_e32 v13, v17
	v_and_b32_e32 v15, 3, v15
	s_delay_alu instid0(VALU_DEP_1)
	v_cmp_eq_u32_e64 s10, 1, v15
	v_cmp_eq_u32_e64 s11, 2, v15
	;; [unrolled: 1-line block ×3, first 2 shown]
	v_mov_b32_e32 v15, v17
	v_cmp_eq_u32_e64 s17, 1, v0
	v_cmp_eq_u32_e64 s18, 2, v0
	;; [unrolled: 1-line block ×3, first 2 shown]
	v_dual_mov_b32 v0, v16 :: v_dual_mov_b32 v1, v17
	v_xor_b32_e32 v18, 32, v9
	v_mov_b32_e32 v9, v17
.LBB78_2:                               ; =>This Inner Loop Header: Depth=1
	s_waitcnt lgkmcnt(9)
	v_mov_b32_dpp v14, v14 quad_perm:[3,0,1,2] row_mask:0xf bank_mask:0xf
	v_mov_b32_dpp v13, v13 quad_perm:[3,0,1,2] row_mask:0xf bank_mask:0xf
	s_waitcnt lgkmcnt(8)
	v_mov_b32_dpp v15, v15 quad_perm:[3,0,1,2] row_mask:0xf bank_mask:0xf
	s_waitcnt lgkmcnt(5)
	v_mov_b32_dpp v10, v10 quad_perm:[2,3,0,1] row_mask:0xf bank_mask:0xf
	v_mov_b32_dpp v12, v12 quad_perm:[3,0,1,2] row_mask:0xf bank_mask:0xf
	v_cndmask_b32_e64 v23, v2, v14, s4
	v_mov_b32_dpp v9, v9 quad_perm:[2,3,0,1] row_mask:0xf bank_mask:0xf
	s_waitcnt lgkmcnt(4)
	v_mov_b32_dpp v11, v11 quad_perm:[2,3,0,1] row_mask:0xf bank_mask:0xf
	s_waitcnt lgkmcnt(1)
	v_mov_b32_dpp v6, v6 quad_perm:[1,2,3,0] row_mask:0xf bank_mask:0xf
	v_cndmask_b32_e64 v22, v3, v15, s4
	v_cndmask_b32_e64 v23, v23, v10, s5
	;; [unrolled: 1-line block ×5, first 2 shown]
	v_mov_b32_dpp v8, v8 quad_perm:[2,3,0,1] row_mask:0xf bank_mask:0xf
	v_mov_b32_dpp v17, v17 quad_perm:[1,2,3,0] row_mask:0xf bank_mask:0xf
	v_dual_cndmask_b32 v20, v2, v14 :: v_dual_cndmask_b32 v21, v3, v15
	s_waitcnt lgkmcnt(0)
	v_mov_b32_dpp v7, v7 quad_perm:[1,2,3,0] row_mask:0xf bank_mask:0xf
	v_cndmask_b32_e32 v24, v0, v12, vcc_lo
	v_cndmask_b32_e64 v22, v22, v11, s5
	v_cndmask_b32_e64 v26, v0, v12, s4
	v_cndmask_b32_e64 v23, v23, v6, s6
	v_cndmask_b32_e64 v27, v3, v15, s7
	v_cndmask_b32_e64 v25, v25, v9, s5
	v_cndmask_b32_e64 v28, v28, v10, s8
	v_cndmask_b32_e64 v29, v29, v9, s8
	v_cndmask_b32_e64 v30, v0, v12, s7
	v_cndmask_b32_e64 v3, v3, v15, s10
	v_cndmask_b32_e64 v2, v2, v14, s10
	v_cndmask_b32_e64 v14, v1, v13, s10
	v_cndmask_b32_e32 v1, v1, v13, vcc_lo
	v_cndmask_b32_e64 v0, v0, v12, s10
	v_mov_b32_dpp v4, v4 quad_perm:[1,2,3,0] row_mask:0xf bank_mask:0xf
	v_cndmask_b32_e64 v20, v20, v10, s2
	v_cndmask_b32_e64 v21, v21, v11, s2
	;; [unrolled: 1-line block ×14, first 2 shown]
	v_mov_b32_dpp v8, v23 quad_perm:[1,2,3,0] row_mask:0xf bank_mask:0xf
	v_cndmask_b32_e64 v20, v20, v6, s3
	v_cndmask_b32_e64 v21, v21, v7, s3
	;; [unrolled: 1-line block ×7, first 2 shown]
	v_mov_b32_dpp v7, v22 quad_perm:[1,2,3,0] row_mask:0xf bank_mask:0xf
	v_mov_b32_dpp v10, v28 quad_perm:[2,3,0,1] row_mask:0xf bank_mask:0xf
	ds_bpermute_b32 v23, v5, v8
	v_mov_b32_dpp v8, v25 quad_perm:[1,2,3,0] row_mask:0xf bank_mask:0xf
	v_cndmask_b32_e64 v26, v26, v4, s6
	v_mov_b32_dpp v12, v27 quad_perm:[2,3,0,1] row_mask:0xf bank_mask:0xf
	ds_bpermute_b32 v22, v5, v7
	ds_bpermute_b32 v27, v18, v10
	v_mov_b32_dpp v10, v11 quad_perm:[2,3,0,1] row_mask:0xf bank_mask:0xf
	v_mov_b32_dpp v11, v15 quad_perm:[2,3,0,1] row_mask:0xf bank_mask:0xf
	ds_bpermute_b32 v25, v5, v8
	v_mov_b32_dpp v7, v26 quad_perm:[1,2,3,0] row_mask:0xf bank_mask:0xf
	v_mov_b32_dpp v2, v2 quad_perm:[3,0,1,2] row_mask:0xf bank_mask:0xf
	;; [unrolled: 1-line block ×3, first 2 shown]
	ds_bpermute_b32 v26, v18, v12
	v_mov_b32_dpp v6, v6 quad_perm:[3,0,1,2] row_mask:0xf bank_mask:0xf
	ds_bpermute_b32 v29, v18, v11
	v_cndmask_b32_e64 v0, v0, v4, s12
	ds_bpermute_b32 v3, v19, v3
	ds_bpermute_b32 v2, v19, v2
	;; [unrolled: 1-line block ×3, first 2 shown]
	v_cndmask_b32_e64 v1, v1, v9, s2
	ds_bpermute_b32 v31, v19, v6
	v_mov_b32_dpp v0, v0 quad_perm:[3,0,1,2] row_mask:0xf bank_mask:0xf
	ds_bpermute_b32 v30, v18, v10
	s_waitcnt lgkmcnt(10)
	v_cndmask_b32_e64 v8, v20, v23, s17
	v_cndmask_b32_e64 v1, v1, v17, s3
	s_waitcnt lgkmcnt(9)
	v_cndmask_b32_e64 v7, v21, v22, s17
	ds_bpermute_b32 v0, v19, v0
	v_cndmask_b32_e64 v9, v21, v22, s20
	v_cndmask_b32_e64 v24, v24, v4, s3
	s_waitcnt lgkmcnt(8)
	v_cndmask_b32_e64 v11, v1, v25, s20
	v_cndmask_b32_e64 v10, v20, v23, s20
	v_cndmask_b32_e64 v12, v21, v22, s23
	s_waitcnt lgkmcnt(7)
	v_cndmask_b32_e64 v6, v7, v26, s18
	v_cndmask_b32_e64 v7, v8, v27, s18
	v_cndmask_b32_e64 v9, v9, v26, s21
	s_waitcnt lgkmcnt(6)
	v_cndmask_b32_e64 v11, v11, v29, s21
	v_cndmask_b32_e64 v13, v20, v23, s23
	s_waitcnt lgkmcnt(5)
	v_cndmask_b32_e64 v4, v6, v3, s19
	s_waitcnt lgkmcnt(4)
	v_cndmask_b32_e64 v6, v7, v2, s19
	v_cndmask_b32_e64 v7, v1, v25, s17
	s_waitcnt lgkmcnt(3)
	v_cndmask_b32_e64 v8, v24, v28, s17
	;; [unrolled: 3-line block ×3, first 2 shown]
	v_cndmask_b32_e64 v11, v24, v28, s20
	v_cndmask_b32_e64 v14, v1, v25, s23
	v_cndmask_b32_e64 v15, v24, v28, s23
	v_cndmask_b32_e64 v7, v7, v29, s18
	s_waitcnt lgkmcnt(1)
	v_cndmask_b32_e64 v8, v8, v30, s18
	v_cndmask_b32_e64 v10, v10, v27, s21
	;; [unrolled: 1-line block ×8, first 2 shown]
	s_waitcnt lgkmcnt(0)
	v_cndmask_b32_e64 v8, v8, v0, s19
	v_cndmask_b32_e64 v10, v10, v2, s22
	;; [unrolled: 1-line block ×7, first 2 shown]
	ds_bpermute_b32 v12, v19, v8
	ds_bpermute_b32 v13, v19, v7
	;; [unrolled: 1-line block ×12, first 2 shown]
	v_cndmask_b32_e64 v1, v1, v25, s13
	v_cndmask_b32_e64 v24, v24, v28, s13
	;; [unrolled: 1-line block ×4, first 2 shown]
	s_add_i32 s26, s26, -1
	v_cndmask_b32_e64 v1, v1, v29, s14
	v_cndmask_b32_e64 v22, v24, v30, s14
	;; [unrolled: 1-line block ×4, first 2 shown]
	s_cmp_eq_u32 s26, 0
	v_cndmask_b32_e64 v1, v1, v31, s16
	v_cndmask_b32_e64 v0, v22, v0, s16
	;; [unrolled: 1-line block ×4, first 2 shown]
	; wave barrier
	s_cbranch_scc0 .LBB78_2
; %bb.3:
	s_waitcnt lgkmcnt(2)
	v_mov_b32_e32 v5, v17
	s_branch .LBB78_5
.LBB78_4:
	v_dual_mov_b32 v17, 0 :: v_dual_mov_b32 v6, 0
	v_dual_mov_b32 v7, 0 :: v_dual_mov_b32 v2, 0
	;; [unrolled: 1-line block ×3, first 2 shown]
	s_delay_alu instid0(VALU_DEP_3)
	v_dual_mov_b32 v13, v17 :: v_dual_mov_b32 v10, 0
	v_dual_mov_b32 v9, v17 :: v_dual_mov_b32 v0, v16
	v_mov_b32_e32 v5, v17
	v_mov_b32_e32 v15, 0
	;; [unrolled: 1-line block ×4, first 2 shown]
.LBB78_5:
	s_load_b64 s[0:1], s[0:1], 0x0
	v_lshl_or_b32 v16, s15, 10, v16
	v_mov_b32_e32 v17, 0
	s_delay_alu instid0(VALU_DEP_1) | instskip(SKIP_1) | instid1(VALU_DEP_1)
	v_lshlrev_b64 v[16:17], 4, v[16:17]
	s_waitcnt lgkmcnt(0)
	v_add_co_u32 v16, vcc_lo, s0, v16
	s_delay_alu instid0(VALU_DEP_2)
	v_add_co_ci_u32_e32 v17, vcc_lo, s1, v17, vcc_lo
	s_clause 0x3
	global_store_b128 v[16:17], v[0:3], off
	global_store_b128 v[16:17], v[12:15], off offset:16
	global_store_b128 v[16:17], v[8:11], off offset:32
	;; [unrolled: 1-line block ×3, first 2 shown]
	s_nop 0
	s_sendmsg sendmsg(MSG_DEALLOC_VGPRS)
	s_endpgm
	.section	.rodata,"a",@progbits
	.p2align	6, 0x0
	.amdhsa_kernel _Z20warp_exchange_kernelILj256ELj4ELj16EN6common25BlockedToStripedShuffleOpEoEvPT3_j
		.amdhsa_group_segment_fixed_size 0
		.amdhsa_private_segment_fixed_size 0
		.amdhsa_kernarg_size 12
		.amdhsa_user_sgpr_count 15
		.amdhsa_user_sgpr_dispatch_ptr 0
		.amdhsa_user_sgpr_queue_ptr 0
		.amdhsa_user_sgpr_kernarg_segment_ptr 1
		.amdhsa_user_sgpr_dispatch_id 0
		.amdhsa_user_sgpr_private_segment_size 0
		.amdhsa_wavefront_size32 1
		.amdhsa_uses_dynamic_stack 0
		.amdhsa_enable_private_segment 0
		.amdhsa_system_sgpr_workgroup_id_x 1
		.amdhsa_system_sgpr_workgroup_id_y 0
		.amdhsa_system_sgpr_workgroup_id_z 0
		.amdhsa_system_sgpr_workgroup_info 0
		.amdhsa_system_vgpr_workitem_id 0
		.amdhsa_next_free_vgpr 36
		.amdhsa_next_free_sgpr 27
		.amdhsa_reserve_vcc 1
		.amdhsa_float_round_mode_32 0
		.amdhsa_float_round_mode_16_64 0
		.amdhsa_float_denorm_mode_32 3
		.amdhsa_float_denorm_mode_16_64 3
		.amdhsa_dx10_clamp 1
		.amdhsa_ieee_mode 1
		.amdhsa_fp16_overflow 0
		.amdhsa_workgroup_processor_mode 1
		.amdhsa_memory_ordered 1
		.amdhsa_forward_progress 0
		.amdhsa_shared_vgpr_count 0
		.amdhsa_exception_fp_ieee_invalid_op 0
		.amdhsa_exception_fp_denorm_src 0
		.amdhsa_exception_fp_ieee_div_zero 0
		.amdhsa_exception_fp_ieee_overflow 0
		.amdhsa_exception_fp_ieee_underflow 0
		.amdhsa_exception_fp_ieee_inexact 0
		.amdhsa_exception_int_div_zero 0
	.end_amdhsa_kernel
	.section	.text._Z20warp_exchange_kernelILj256ELj4ELj16EN6common25BlockedToStripedShuffleOpEoEvPT3_j,"axG",@progbits,_Z20warp_exchange_kernelILj256ELj4ELj16EN6common25BlockedToStripedShuffleOpEoEvPT3_j,comdat
.Lfunc_end78:
	.size	_Z20warp_exchange_kernelILj256ELj4ELj16EN6common25BlockedToStripedShuffleOpEoEvPT3_j, .Lfunc_end78-_Z20warp_exchange_kernelILj256ELj4ELj16EN6common25BlockedToStripedShuffleOpEoEvPT3_j
                                        ; -- End function
	.section	.AMDGPU.csdata,"",@progbits
; Kernel info:
; codeLenInByte = 1796
; NumSgprs: 29
; NumVgprs: 36
; ScratchSize: 0
; MemoryBound: 0
; FloatMode: 240
; IeeeMode: 1
; LDSByteSize: 0 bytes/workgroup (compile time only)
; SGPRBlocks: 3
; VGPRBlocks: 4
; NumSGPRsForWavesPerEU: 29
; NumVGPRsForWavesPerEU: 36
; Occupancy: 16
; WaveLimiterHint : 0
; COMPUTE_PGM_RSRC2:SCRATCH_EN: 0
; COMPUTE_PGM_RSRC2:USER_SGPR: 15
; COMPUTE_PGM_RSRC2:TRAP_HANDLER: 0
; COMPUTE_PGM_RSRC2:TGID_X_EN: 1
; COMPUTE_PGM_RSRC2:TGID_Y_EN: 0
; COMPUTE_PGM_RSRC2:TGID_Z_EN: 0
; COMPUTE_PGM_RSRC2:TIDIG_COMP_CNT: 0
	.section	.text._Z20warp_exchange_kernelILj256ELj4ELj32EN6common25BlockedToStripedShuffleOpEoEvPT3_j,"axG",@progbits,_Z20warp_exchange_kernelILj256ELj4ELj32EN6common25BlockedToStripedShuffleOpEoEvPT3_j,comdat
	.protected	_Z20warp_exchange_kernelILj256ELj4ELj32EN6common25BlockedToStripedShuffleOpEoEvPT3_j ; -- Begin function _Z20warp_exchange_kernelILj256ELj4ELj32EN6common25BlockedToStripedShuffleOpEoEvPT3_j
	.globl	_Z20warp_exchange_kernelILj256ELj4ELj32EN6common25BlockedToStripedShuffleOpEoEvPT3_j
	.p2align	8
	.type	_Z20warp_exchange_kernelILj256ELj4ELj32EN6common25BlockedToStripedShuffleOpEoEvPT3_j,@function
_Z20warp_exchange_kernelILj256ELj4ELj32EN6common25BlockedToStripedShuffleOpEoEvPT3_j: ; @_Z20warp_exchange_kernelILj256ELj4ELj32EN6common25BlockedToStripedShuffleOpEoEvPT3_j
; %bb.0:
	s_load_b32 s5, s[0:1], 0x8
	v_dual_mov_b32 v17, 0 :: v_dual_lshlrev_b32 v16, 2, v0
	s_delay_alu instid0(VALU_DEP_1)
	v_or_b32_e32 v22, 1, v16
	v_or_b32_e32 v20, 2, v16
	;; [unrolled: 1-line block ×3, first 2 shown]
	s_waitcnt lgkmcnt(0)
	s_cmp_eq_u32 s5, 0
	s_cbranch_scc1 .LBB79_27
; %bb.1:
	v_mbcnt_lo_u32_b32 v0, -1, 0
	v_dual_mov_b32 v29, 0 :: v_dual_mov_b32 v32, 0
	v_dual_mov_b32 v31, 0 :: v_dual_mov_b32 v34, 0
	s_delay_alu instid0(VALU_DEP_3) | instskip(SKIP_2) | instid1(VALU_DEP_3)
	v_dual_mov_b32 v30, 0 :: v_dual_and_b32 v1, 3, v0
	v_dual_mov_b32 v24, 0 :: v_dual_and_b32 v25, 28, v0
	v_dual_mov_b32 v33, 0 :: v_dual_mov_b32 v36, 0
	v_cmp_eq_u32_e32 vcc_lo, 0, v1
	v_cmp_eq_u32_e64 s2, 1, v1
	v_cmp_eq_u32_e64 s3, 2, v1
	;; [unrolled: 1-line block ×3, first 2 shown]
	v_or_b32_e32 v26, 32, v25
	v_or_b32_e32 v27, 64, v25
	v_or_b32_e32 v28, 0x60, v25
	v_mov_b32_e32 v19, 0
	v_mov_b32_e32 v23, 0
	;; [unrolled: 1-line block ×4, first 2 shown]
	s_branch .LBB79_3
.LBB79_2:                               ;   in Loop: Header=BB79_3 Depth=1
	s_or_b32 exec_lo, exec_lo, s6
	s_waitcnt lgkmcnt(3)
	v_dual_mov_b32 v18, v12 :: v_dual_mov_b32 v17, v13
	v_dual_mov_b32 v29, v14 :: v_dual_mov_b32 v30, v15
	s_waitcnt lgkmcnt(1)
	v_dual_mov_b32 v20, v8 :: v_dual_mov_b32 v31, v9
	v_dual_mov_b32 v32, v10 :: v_dual_mov_b32 v33, v11
	;; [unrolled: 1-line block ×4, first 2 shown]
	s_waitcnt lgkmcnt(0)
	v_dual_mov_b32 v21, v0 :: v_dual_mov_b32 v34, v1
	v_dual_mov_b32 v35, v2 :: v_dual_mov_b32 v36, v3
	s_add_i32 s5, s5, -1
	s_delay_alu instid0(SALU_CYCLE_1)
	s_cmp_lg_u32 s5, 0
	; wave barrier
	s_cbranch_scc0 .LBB79_28
.LBB79_3:                               ; =>This Inner Loop Header: Depth=1
	ds_bpermute_b32 v0, v25, v21
	ds_bpermute_b32 v1, v25, v34
	;; [unrolled: 1-line block ×4, first 2 shown]
	s_and_saveexec_b32 s6, vcc_lo
	s_delay_alu instid0(SALU_CYCLE_1)
	s_or_b32 exec_lo, exec_lo, s6
	ds_bpermute_b32 v4, v25, v22
	ds_bpermute_b32 v5, v25, v19
	;; [unrolled: 1-line block ×4, first 2 shown]
	s_and_saveexec_b32 s6, s2
	s_cbranch_execz .LBB79_5
; %bb.4:                                ;   in Loop: Header=BB79_3 Depth=1
	s_waitcnt lgkmcnt(2)
	v_dual_mov_b32 v0, v4 :: v_dual_mov_b32 v1, v5
	s_waitcnt lgkmcnt(0)
	v_dual_mov_b32 v2, v6 :: v_dual_mov_b32 v3, v7
.LBB79_5:                               ;   in Loop: Header=BB79_3 Depth=1
	s_or_b32 exec_lo, exec_lo, s6
	s_waitcnt lgkmcnt(3)
	ds_bpermute_b32 v4, v25, v20
	s_waitcnt lgkmcnt(3)
	ds_bpermute_b32 v5, v25, v31
	s_waitcnt lgkmcnt(3)
	ds_bpermute_b32 v6, v25, v32
	s_waitcnt lgkmcnt(3)
	ds_bpermute_b32 v7, v25, v33
	s_and_saveexec_b32 s6, s3
	s_cbranch_execz .LBB79_7
; %bb.6:                                ;   in Loop: Header=BB79_3 Depth=1
	s_waitcnt lgkmcnt(2)
	v_dual_mov_b32 v0, v4 :: v_dual_mov_b32 v1, v5
	s_waitcnt lgkmcnt(0)
	v_dual_mov_b32 v2, v6 :: v_dual_mov_b32 v3, v7
.LBB79_7:                               ;   in Loop: Header=BB79_3 Depth=1
	s_or_b32 exec_lo, exec_lo, s6
	s_waitcnt lgkmcnt(3)
	ds_bpermute_b32 v4, v25, v18
	s_waitcnt lgkmcnt(3)
	ds_bpermute_b32 v5, v25, v17
	s_waitcnt lgkmcnt(3)
	ds_bpermute_b32 v6, v25, v29
	s_waitcnt lgkmcnt(3)
	ds_bpermute_b32 v7, v25, v30
	;; [unrolled: 17-line block ×3, first 2 shown]
	s_and_saveexec_b32 s6, vcc_lo
	s_delay_alu instid0(SALU_CYCLE_1)
	s_or_b32 exec_lo, exec_lo, s6
	ds_bpermute_b32 v8, v26, v22
	ds_bpermute_b32 v9, v26, v19
	;; [unrolled: 1-line block ×4, first 2 shown]
	s_and_saveexec_b32 s6, s2
	s_cbranch_execz .LBB79_11
; %bb.10:                               ;   in Loop: Header=BB79_3 Depth=1
	s_waitcnt lgkmcnt(2)
	v_dual_mov_b32 v4, v8 :: v_dual_mov_b32 v5, v9
	s_waitcnt lgkmcnt(0)
	v_dual_mov_b32 v6, v10 :: v_dual_mov_b32 v7, v11
.LBB79_11:                              ;   in Loop: Header=BB79_3 Depth=1
	s_or_b32 exec_lo, exec_lo, s6
	s_waitcnt lgkmcnt(3)
	ds_bpermute_b32 v8, v26, v20
	s_waitcnt lgkmcnt(3)
	ds_bpermute_b32 v9, v26, v31
	s_waitcnt lgkmcnt(3)
	ds_bpermute_b32 v10, v26, v32
	s_waitcnt lgkmcnt(3)
	ds_bpermute_b32 v11, v26, v33
	s_and_saveexec_b32 s6, s3
	s_cbranch_execz .LBB79_13
; %bb.12:                               ;   in Loop: Header=BB79_3 Depth=1
	s_waitcnt lgkmcnt(2)
	v_dual_mov_b32 v4, v8 :: v_dual_mov_b32 v5, v9
	s_waitcnt lgkmcnt(0)
	v_dual_mov_b32 v6, v10 :: v_dual_mov_b32 v7, v11
.LBB79_13:                              ;   in Loop: Header=BB79_3 Depth=1
	s_or_b32 exec_lo, exec_lo, s6
	s_waitcnt lgkmcnt(3)
	ds_bpermute_b32 v8, v26, v18
	s_waitcnt lgkmcnt(3)
	ds_bpermute_b32 v9, v26, v17
	s_waitcnt lgkmcnt(3)
	ds_bpermute_b32 v10, v26, v29
	s_waitcnt lgkmcnt(3)
	ds_bpermute_b32 v11, v26, v30
	;; [unrolled: 17-line block ×3, first 2 shown]
	s_and_saveexec_b32 s6, vcc_lo
	s_delay_alu instid0(SALU_CYCLE_1)
	s_or_b32 exec_lo, exec_lo, s6
	ds_bpermute_b32 v12, v27, v22
	ds_bpermute_b32 v13, v27, v19
	;; [unrolled: 1-line block ×4, first 2 shown]
	s_and_saveexec_b32 s6, s2
	s_cbranch_execz .LBB79_17
; %bb.16:                               ;   in Loop: Header=BB79_3 Depth=1
	s_waitcnt lgkmcnt(2)
	v_dual_mov_b32 v8, v12 :: v_dual_mov_b32 v9, v13
	s_waitcnt lgkmcnt(0)
	v_dual_mov_b32 v10, v14 :: v_dual_mov_b32 v11, v15
.LBB79_17:                              ;   in Loop: Header=BB79_3 Depth=1
	s_or_b32 exec_lo, exec_lo, s6
	s_waitcnt lgkmcnt(3)
	ds_bpermute_b32 v12, v27, v20
	s_waitcnt lgkmcnt(3)
	ds_bpermute_b32 v13, v27, v31
	s_waitcnt lgkmcnt(3)
	ds_bpermute_b32 v14, v27, v32
	s_waitcnt lgkmcnt(3)
	ds_bpermute_b32 v15, v27, v33
	s_and_saveexec_b32 s6, s3
	s_cbranch_execz .LBB79_19
; %bb.18:                               ;   in Loop: Header=BB79_3 Depth=1
	s_waitcnt lgkmcnt(2)
	v_dual_mov_b32 v8, v12 :: v_dual_mov_b32 v9, v13
	s_waitcnt lgkmcnt(0)
	v_dual_mov_b32 v10, v14 :: v_dual_mov_b32 v11, v15
.LBB79_19:                              ;   in Loop: Header=BB79_3 Depth=1
	s_or_b32 exec_lo, exec_lo, s6
	s_waitcnt lgkmcnt(3)
	ds_bpermute_b32 v12, v27, v18
	s_waitcnt lgkmcnt(3)
	ds_bpermute_b32 v13, v27, v17
	s_waitcnt lgkmcnt(3)
	ds_bpermute_b32 v14, v27, v29
	s_waitcnt lgkmcnt(3)
	ds_bpermute_b32 v15, v27, v30
	;; [unrolled: 17-line block ×3, first 2 shown]
	s_and_saveexec_b32 s6, vcc_lo
	s_delay_alu instid0(SALU_CYCLE_1)
	s_or_b32 exec_lo, exec_lo, s6
	ds_bpermute_b32 v21, v28, v22
	ds_bpermute_b32 v22, v28, v19
	;; [unrolled: 1-line block ×4, first 2 shown]
	s_and_saveexec_b32 s6, s2
	s_cbranch_execz .LBB79_23
; %bb.22:                               ;   in Loop: Header=BB79_3 Depth=1
	s_waitcnt lgkmcnt(2)
	v_dual_mov_b32 v12, v21 :: v_dual_mov_b32 v13, v22
	s_waitcnt lgkmcnt(0)
	v_dual_mov_b32 v14, v23 :: v_dual_mov_b32 v15, v24
.LBB79_23:                              ;   in Loop: Header=BB79_3 Depth=1
	s_or_b32 exec_lo, exec_lo, s6
	ds_bpermute_b32 v19, v28, v20
	ds_bpermute_b32 v20, v28, v31
	s_waitcnt lgkmcnt(5)
	ds_bpermute_b32 v21, v28, v32
	s_waitcnt lgkmcnt(5)
	ds_bpermute_b32 v22, v28, v33
	s_and_saveexec_b32 s6, s3
	s_cbranch_execz .LBB79_25
; %bb.24:                               ;   in Loop: Header=BB79_3 Depth=1
	s_waitcnt lgkmcnt(2)
	v_dual_mov_b32 v12, v19 :: v_dual_mov_b32 v13, v20
	s_waitcnt lgkmcnt(0)
	v_dual_mov_b32 v14, v21 :: v_dual_mov_b32 v15, v22
.LBB79_25:                              ;   in Loop: Header=BB79_3 Depth=1
	s_or_b32 exec_lo, exec_lo, s6
	ds_bpermute_b32 v18, v28, v18
	s_waitcnt lgkmcnt(4)
	ds_bpermute_b32 v19, v28, v17
	s_waitcnt lgkmcnt(4)
	;; [unrolled: 2-line block ×3, first 2 shown]
	ds_bpermute_b32 v21, v28, v30
	s_and_saveexec_b32 s6, s4
	s_cbranch_execz .LBB79_2
; %bb.26:                               ;   in Loop: Header=BB79_3 Depth=1
	s_waitcnt lgkmcnt(2)
	v_dual_mov_b32 v12, v18 :: v_dual_mov_b32 v13, v19
	s_waitcnt lgkmcnt(0)
	v_dual_mov_b32 v14, v20 :: v_dual_mov_b32 v15, v21
	s_branch .LBB79_2
.LBB79_27:
	v_dual_mov_b32 v2, 0 :: v_dual_mov_b32 v23, v17
	v_dual_mov_b32 v3, 0 :: v_dual_mov_b32 v14, 0
	;; [unrolled: 1-line block ×3, first 2 shown]
	v_mov_b32_e32 v19, v17
	v_dual_mov_b32 v15, 0 :: v_dual_mov_b32 v0, v16
	s_delay_alu instid0(VALU_DEP_4)
	v_mov_b32_e32 v7, v3
	v_dual_mov_b32 v1, v17 :: v_dual_mov_b32 v8, v20
	v_dual_mov_b32 v6, v2 :: v_dual_mov_b32 v11, v3
	v_dual_mov_b32 v12, v18 :: v_dual_mov_b32 v5, v23
	v_dual_mov_b32 v10, v2 :: v_dual_mov_b32 v9, v21
	v_mov_b32_e32 v13, v19
.LBB79_28:
	s_load_b64 s[0:1], s[0:1], 0x0
	v_lshl_or_b32 v16, s15, 10, v16
	v_mov_b32_e32 v17, 0
	s_delay_alu instid0(VALU_DEP_1) | instskip(SKIP_1) | instid1(VALU_DEP_1)
	v_lshlrev_b64 v[16:17], 4, v[16:17]
	s_waitcnt lgkmcnt(0)
	v_add_co_u32 v16, vcc_lo, s0, v16
	s_delay_alu instid0(VALU_DEP_2)
	v_add_co_ci_u32_e32 v17, vcc_lo, s1, v17, vcc_lo
	s_clause 0x3
	global_store_b128 v[16:17], v[0:3], off
	global_store_b128 v[16:17], v[4:7], off offset:16
	global_store_b128 v[16:17], v[8:11], off offset:32
	;; [unrolled: 1-line block ×3, first 2 shown]
	s_nop 0
	s_sendmsg sendmsg(MSG_DEALLOC_VGPRS)
	s_endpgm
	.section	.rodata,"a",@progbits
	.p2align	6, 0x0
	.amdhsa_kernel _Z20warp_exchange_kernelILj256ELj4ELj32EN6common25BlockedToStripedShuffleOpEoEvPT3_j
		.amdhsa_group_segment_fixed_size 0
		.amdhsa_private_segment_fixed_size 0
		.amdhsa_kernarg_size 12
		.amdhsa_user_sgpr_count 15
		.amdhsa_user_sgpr_dispatch_ptr 0
		.amdhsa_user_sgpr_queue_ptr 0
		.amdhsa_user_sgpr_kernarg_segment_ptr 1
		.amdhsa_user_sgpr_dispatch_id 0
		.amdhsa_user_sgpr_private_segment_size 0
		.amdhsa_wavefront_size32 1
		.amdhsa_uses_dynamic_stack 0
		.amdhsa_enable_private_segment 0
		.amdhsa_system_sgpr_workgroup_id_x 1
		.amdhsa_system_sgpr_workgroup_id_y 0
		.amdhsa_system_sgpr_workgroup_id_z 0
		.amdhsa_system_sgpr_workgroup_info 0
		.amdhsa_system_vgpr_workitem_id 0
		.amdhsa_next_free_vgpr 37
		.amdhsa_next_free_sgpr 16
		.amdhsa_reserve_vcc 1
		.amdhsa_float_round_mode_32 0
		.amdhsa_float_round_mode_16_64 0
		.amdhsa_float_denorm_mode_32 3
		.amdhsa_float_denorm_mode_16_64 3
		.amdhsa_dx10_clamp 1
		.amdhsa_ieee_mode 1
		.amdhsa_fp16_overflow 0
		.amdhsa_workgroup_processor_mode 1
		.amdhsa_memory_ordered 1
		.amdhsa_forward_progress 0
		.amdhsa_shared_vgpr_count 0
		.amdhsa_exception_fp_ieee_invalid_op 0
		.amdhsa_exception_fp_denorm_src 0
		.amdhsa_exception_fp_ieee_div_zero 0
		.amdhsa_exception_fp_ieee_overflow 0
		.amdhsa_exception_fp_ieee_underflow 0
		.amdhsa_exception_fp_ieee_inexact 0
		.amdhsa_exception_int_div_zero 0
	.end_amdhsa_kernel
	.section	.text._Z20warp_exchange_kernelILj256ELj4ELj32EN6common25BlockedToStripedShuffleOpEoEvPT3_j,"axG",@progbits,_Z20warp_exchange_kernelILj256ELj4ELj32EN6common25BlockedToStripedShuffleOpEoEvPT3_j,comdat
.Lfunc_end79:
	.size	_Z20warp_exchange_kernelILj256ELj4ELj32EN6common25BlockedToStripedShuffleOpEoEvPT3_j, .Lfunc_end79-_Z20warp_exchange_kernelILj256ELj4ELj32EN6common25BlockedToStripedShuffleOpEoEvPT3_j
                                        ; -- End function
	.section	.AMDGPU.csdata,"",@progbits
; Kernel info:
; codeLenInByte = 1592
; NumSgprs: 18
; NumVgprs: 37
; ScratchSize: 0
; MemoryBound: 0
; FloatMode: 240
; IeeeMode: 1
; LDSByteSize: 0 bytes/workgroup (compile time only)
; SGPRBlocks: 2
; VGPRBlocks: 4
; NumSGPRsForWavesPerEU: 18
; NumVGPRsForWavesPerEU: 37
; Occupancy: 16
; WaveLimiterHint : 0
; COMPUTE_PGM_RSRC2:SCRATCH_EN: 0
; COMPUTE_PGM_RSRC2:USER_SGPR: 15
; COMPUTE_PGM_RSRC2:TRAP_HANDLER: 0
; COMPUTE_PGM_RSRC2:TGID_X_EN: 1
; COMPUTE_PGM_RSRC2:TGID_Y_EN: 0
; COMPUTE_PGM_RSRC2:TGID_Z_EN: 0
; COMPUTE_PGM_RSRC2:TIDIG_COMP_CNT: 0
	.section	.text._Z20warp_exchange_kernelILj256ELj16ELj16EN6common25BlockedToStripedShuffleOpEoEvPT3_j,"axG",@progbits,_Z20warp_exchange_kernelILj256ELj16ELj16EN6common25BlockedToStripedShuffleOpEoEvPT3_j,comdat
	.protected	_Z20warp_exchange_kernelILj256ELj16ELj16EN6common25BlockedToStripedShuffleOpEoEvPT3_j ; -- Begin function _Z20warp_exchange_kernelILj256ELj16ELj16EN6common25BlockedToStripedShuffleOpEoEvPT3_j
	.globl	_Z20warp_exchange_kernelILj256ELj16ELj16EN6common25BlockedToStripedShuffleOpEoEvPT3_j
	.p2align	8
	.type	_Z20warp_exchange_kernelILj256ELj16ELj16EN6common25BlockedToStripedShuffleOpEoEvPT3_j,@function
_Z20warp_exchange_kernelILj256ELj16ELj16EN6common25BlockedToStripedShuffleOpEoEvPT3_j: ; @_Z20warp_exchange_kernelILj256ELj16ELj16EN6common25BlockedToStripedShuffleOpEoEvPT3_j
; %bb.0:
	s_load_b32 s5, s[0:1], 0x8
	v_lshlrev_b32_e32 v64, 4, v0
	s_delay_alu instid0(VALU_DEP_1)
	v_or_b32_e32 v56, 1, v64
	v_or_b32_e32 v52, 2, v64
	;; [unrolled: 1-line block ×15, first 2 shown]
	s_waitcnt lgkmcnt(0)
	s_cmp_eq_u32 s5, 0
	s_cbranch_scc1 .LBB80_3
; %bb.1:
	v_mbcnt_lo_u32_b32 v6, -1, 0
	v_dual_mov_b32 v1, 0 :: v_dual_mov_b32 v2, 0
	s_movk_i32 s2, 0x80
	s_delay_alu instid0(VALU_DEP_2) | instskip(SKIP_1) | instid1(VALU_DEP_3)
	v_dual_mov_b32 v22, 0xc0 :: v_dual_and_b32 v7, 8, v6
	v_mov_b32_e32 v3, 0
	v_mov_b32_e32 v29, v1
	;; [unrolled: 1-line block ×3, first 2 shown]
	s_delay_alu instid0(VALU_DEP_4) | instskip(SKIP_3) | instid1(VALU_DEP_4)
	v_dual_mov_b32 v17, v1 :: v_dual_lshlrev_b32 v10, 4, v7
	v_and_b32_e32 v15, 4, v6
	v_dual_mov_b32 v47, v3 :: v_dual_mov_b32 v46, v2
	v_mov_b32_e32 v11, 0xa0
	v_xad_u32 v66, v10, s2, 0
	s_delay_alu instid0(VALU_DEP_4)
	v_lshlrev_b32_e32 v23, 4, v15
	v_cmp_eq_u32_e64 s2, 0, v15
	v_and_b32_e32 v15, 2, v6
	v_dual_mov_b32 v43, v3 :: v_dual_and_b32 v6, 1, v6
	v_mov_b32_e32 v10, 0x90
	v_mov_b32_e32 v42, v2
	s_delay_alu instid0(VALU_DEP_4) | instskip(NEXT) | instid1(VALU_DEP_4)
	v_cmp_eq_u32_e64 s3, 0, v15
	v_cmp_eq_u32_e64 s4, 0, v6
	v_dual_mov_b32 v59, v3 :: v_dual_mov_b32 v58, v2
	v_dual_mov_b32 v9, v1 :: v_dual_mov_b32 v14, 0xb0
	s_delay_alu instid0(VALU_DEP_4) | instskip(SKIP_4) | instid1(VALU_DEP_4)
	v_cndmask_b32_e64 v77, 0x80, v11, s3
	v_lshlrev_b32_e32 v11, 4, v6
	v_cndmask_b32_e64 v83, 0x80, v10, s4
	v_dual_mov_b32 v13, v1 :: v_dual_mov_b32 v18, 0xd0
	v_mov_b32_e32 v25, v1
	v_xad_u32 v81, v11, 16, 0
	v_mov_b32_e32 v11, v3
	v_mov_b32_e32 v19, 0xe0
	v_xad_u32 v70, v23, 64, 0
	v_mov_b32_e32 v23, 0x70
	v_cndmask_b32_e64 v71, 0x80, v22, s2
	v_lshlrev_b32_e32 v22, 4, v15
	v_mov_b32_e32 v10, v2
	v_cmp_eq_u32_e32 vcc_lo, 0, v7
	v_mov_b32_e32 v7, 0xf0
	v_mov_b32_e32 v65, v1
	v_dual_mov_b32 v39, v3 :: v_dual_mov_b32 v38, v2
	v_mov_b32_e32 v51, v3
	v_mov_b32_e32 v55, v3
	v_dual_cndmask_b32 v67, 0x50, v18 :: v_dual_mov_b32 v62, 0
	v_cndmask_b32_e64 v72, 0x90, v18, s2
	v_xad_u32 v75, v22, 32, 0
	v_cndmask_b32_e64 v76, 0x50, v23, s3
	v_cndmask_b32_e64 v78, 0x90, v14, s3
	;; [unrolled: 1-line block ×5, first 2 shown]
	v_mov_b32_e32 v15, v3
	v_mov_b32_e32 v23, v3
	;; [unrolled: 1-line block ×4, first 2 shown]
	v_dual_mov_b32 v35, v3 :: v_dual_mov_b32 v50, v2
	v_dual_mov_b32 v21, v1 :: v_dual_cndmask_b32 v68, 0x60, v19
	v_cndmask_b32_e64 v73, 0xa0, v19, s2
	v_cndmask_b32_e64 v79, 0xc0, v19, s3
	v_dual_mov_b32 v19, v3 :: v_dual_mov_b32 v54, v2
	v_dual_cndmask_b32 v69, 0x70, v7 :: v_dual_mov_b32 v60, v64
	v_cndmask_b32_e64 v74, 0xb0, v7, s2
	v_cndmask_b32_e64 v80, 0xd0, v7, s3
	v_cndmask_b32_e64 v86, 0xe0, v7, s4
	v_mov_b32_e32 v7, v3
	v_dual_mov_b32 v33, v1 :: v_dual_mov_b32 v6, v2
	v_dual_mov_b32 v37, v1 :: v_dual_mov_b32 v14, v2
	;; [unrolled: 1-line block ×7, first 2 shown]
	v_mov_b32_e32 v63, 0
	v_mov_b32_e32 v61, v65
	v_cndmask_b32_e64 v65, 16, 0x90, vcc_lo
	v_cndmask_b32_e64 v87, 32, 0xa0, vcc_lo
	v_cndmask_b32_e64 v88, 16, 0x50, s2
	v_cndmask_b32_e64 v89, 16, 48, s3
	;; [unrolled: 1-line block ×3, first 2 shown]
	v_cndmask_b32_e64 v91, 48, 0xb0, vcc_lo
	v_cndmask_b32_e64 v92, 64, 0xc0, vcc_lo
	v_cndmask_b32_e64 v93, 32, 0x60, s2
	v_cndmask_b32_e64 v94, 48, 0x70, s2
	;; [unrolled: 1-line block ×4, first 2 shown]
.LBB80_2:                               ; =>This Inner Loop Header: Depth=1
	s_waitcnt vmcnt(15)
	scratch_store_b128 off, v[60:63], off
	s_waitcnt vmcnt(9)
	scratch_store_b128 off, v[56:59], off offset:16
	s_waitcnt vmcnt(8)
	s_clause 0x5
	scratch_store_b128 off, v[52:55], off offset:32
	scratch_store_b128 off, v[48:51], off offset:48
	scratch_store_b128 off, v[44:47], off offset:64
	scratch_store_b128 off, v[40:43], off offset:80
	scratch_store_b128 off, v[36:39], off offset:96
	scratch_store_b128 off, v[32:35], off offset:112
	s_waitcnt vmcnt(7)
	scratch_store_b128 off, v[28:31], off offset:128
	scratch_load_b128 v[28:31], v66, off
	s_add_i32 s5, s5, -1
	s_delay_alu instid0(SALU_CYCLE_1)
	s_cmp_lg_u32 s5, 0
	s_waitcnt vmcnt(0)
	ds_swizzle_b32 v28, v28 offset:swizzle(SWAP,8)
	ds_swizzle_b32 v29, v29 offset:swizzle(SWAP,8)
	ds_swizzle_b32 v30, v30 offset:swizzle(SWAP,8)
	ds_swizzle_b32 v31, v31 offset:swizzle(SWAP,8)
	scratch_store_b128 off, v[24:27], off offset:144
	s_waitcnt lgkmcnt(0)
	scratch_store_b128 v66, v[28:31], off
	scratch_load_b128 v[24:27], v65, off
	s_waitcnt vmcnt(0)
	ds_swizzle_b32 v24, v24 offset:swizzle(SWAP,8)
	ds_swizzle_b32 v25, v25 offset:swizzle(SWAP,8)
	ds_swizzle_b32 v26, v26 offset:swizzle(SWAP,8)
	ds_swizzle_b32 v27, v27 offset:swizzle(SWAP,8)
	scratch_store_b128 off, v[20:23], off offset:160
	s_waitcnt lgkmcnt(0)
	scratch_store_b128 v65, v[24:27], off
	scratch_load_b128 v[20:23], v87, off
	;; [unrolled: 9-line block ×4, first 2 shown]
	s_waitcnt vmcnt(0)
	ds_swizzle_b32 v12, v12 offset:swizzle(SWAP,8)
	ds_swizzle_b32 v13, v13 offset:swizzle(SWAP,8)
	;; [unrolled: 1-line block ×4, first 2 shown]
	scratch_store_b128 off, v[8:11], off offset:208
	s_waitcnt lgkmcnt(0)
	scratch_store_b128 v92, v[12:15], off
	s_clause 0x1
	scratch_load_b128 v[8:11], v67, off
	scratch_load_b128 v[12:15], v70, off
	scratch_store_b128 off, v[4:7], off offset:224
	s_waitcnt vmcnt(1)
	ds_swizzle_b32 v4, v8 offset:swizzle(SWAP,8)
	ds_swizzle_b32 v5, v9 offset:swizzle(SWAP,8)
	;; [unrolled: 1-line block ×4, first 2 shown]
	s_waitcnt vmcnt(0)
	ds_swizzle_b32 v8, v12 offset:swizzle(SWAP,4)
	ds_swizzle_b32 v9, v13 offset:swizzle(SWAP,4)
	;; [unrolled: 1-line block ×4, first 2 shown]
	s_waitcnt lgkmcnt(4)
	scratch_store_b128 v67, v[4:7], off
	s_waitcnt lgkmcnt(0)
	scratch_store_b128 v70, v[8:11], off
	s_clause 0x1
	scratch_load_b128 v[4:7], v68, off
	scratch_load_b128 v[8:11], v88, off
	scratch_store_b128 off, v[0:3], off offset:240
	s_waitcnt vmcnt(1)
	ds_swizzle_b32 v0, v4 offset:swizzle(SWAP,8)
	ds_swizzle_b32 v1, v5 offset:swizzle(SWAP,8)
	ds_swizzle_b32 v2, v6 offset:swizzle(SWAP,8)
	ds_swizzle_b32 v3, v7 offset:swizzle(SWAP,8)
	s_waitcnt vmcnt(0)
	ds_swizzle_b32 v4, v8 offset:swizzle(SWAP,4)
	ds_swizzle_b32 v5, v9 offset:swizzle(SWAP,4)
	ds_swizzle_b32 v6, v10 offset:swizzle(SWAP,4)
	ds_swizzle_b32 v7, v11 offset:swizzle(SWAP,4)
	s_waitcnt lgkmcnt(4)
	scratch_store_b128 v68, v[0:3], off
	s_waitcnt lgkmcnt(0)
	scratch_store_b128 v88, v[4:7], off
	s_clause 0x1
	scratch_load_b128 v[0:3], v69, off
	scratch_load_b128 v[4:7], v93, off
	s_waitcnt vmcnt(1)
	ds_swizzle_b32 v0, v0 offset:swizzle(SWAP,8)
	ds_swizzle_b32 v1, v1 offset:swizzle(SWAP,8)
	ds_swizzle_b32 v2, v2 offset:swizzle(SWAP,8)
	ds_swizzle_b32 v3, v3 offset:swizzle(SWAP,8)
	s_waitcnt vmcnt(0)
	ds_swizzle_b32 v4, v4 offset:swizzle(SWAP,4)
	ds_swizzle_b32 v5, v5 offset:swizzle(SWAP,4)
	ds_swizzle_b32 v6, v6 offset:swizzle(SWAP,4)
	ds_swizzle_b32 v7, v7 offset:swizzle(SWAP,4)
	s_waitcnt lgkmcnt(4)
	scratch_store_b128 v69, v[0:3], off
	s_waitcnt lgkmcnt(0)
	scratch_store_b128 v93, v[4:7], off
	s_clause 0x1
	scratch_load_b128 v[0:3], v94, off
	scratch_load_b128 v[4:7], v71, off
	;; [unrolled: 17-line block ×4, first 2 shown]
	s_waitcnt vmcnt(1)
	ds_swizzle_b32 v0, v0 offset:swizzle(SWAP,4)
	ds_swizzle_b32 v1, v1 offset:swizzle(SWAP,4)
	;; [unrolled: 1-line block ×4, first 2 shown]
	s_waitcnt vmcnt(0)
	ds_swizzle_b32 v4, v4 offset:swizzle(SWAP,2)
	ds_swizzle_b32 v5, v5 offset:swizzle(SWAP,2)
	;; [unrolled: 1-line block ×4, first 2 shown]
	s_waitcnt lgkmcnt(4)
	scratch_store_b128 v73, v[0:3], off
	s_clause 0x1
	scratch_load_b128 v[0:3], v74, off
	scratch_load_b128 v[8:11], v95, off
	s_waitcnt vmcnt(1)
	ds_swizzle_b32 v0, v0 offset:swizzle(SWAP,4)
	ds_swizzle_b32 v1, v1 offset:swizzle(SWAP,4)
	ds_swizzle_b32 v2, v2 offset:swizzle(SWAP,4)
	ds_swizzle_b32 v3, v3 offset:swizzle(SWAP,4)
	s_waitcnt vmcnt(0)
	ds_swizzle_b32 v8, v8 offset:swizzle(SWAP,2)
	ds_swizzle_b32 v9, v9 offset:swizzle(SWAP,2)
	ds_swizzle_b32 v10, v10 offset:swizzle(SWAP,2)
	ds_swizzle_b32 v11, v11 offset:swizzle(SWAP,2)
	s_waitcnt lgkmcnt(4)
	scratch_store_b128 v74, v[0:3], off
	s_waitcnt lgkmcnt(0)
	scratch_store_b128 v95, v[8:11], off
	s_clause 0x1
	scratch_load_b128 v[0:3], v76, off
	scratch_load_b128 v[8:11], v77, off
	s_waitcnt vmcnt(1)
	ds_swizzle_b32 v0, v0 offset:swizzle(SWAP,2)
	ds_swizzle_b32 v1, v1 offset:swizzle(SWAP,2)
	ds_swizzle_b32 v2, v2 offset:swizzle(SWAP,2)
	ds_swizzle_b32 v3, v3 offset:swizzle(SWAP,2)
	s_waitcnt vmcnt(0)
	ds_swizzle_b32 v8, v8 offset:swizzle(SWAP,2)
	ds_swizzle_b32 v9, v9 offset:swizzle(SWAP,2)
	ds_swizzle_b32 v10, v10 offset:swizzle(SWAP,2)
	ds_swizzle_b32 v11, v11 offset:swizzle(SWAP,2)
	s_waitcnt lgkmcnt(4)
	scratch_store_b128 v76, v[0:3], off
	;; [unrolled: 17-line block ×3, first 2 shown]
	s_waitcnt lgkmcnt(0)
	scratch_store_b128 v79, v[8:11], off
	scratch_load_b128 v[0:3], v80, off
	scratch_store_b128 v89, v[4:7], off
	s_clause 0x5
	scratch_load_b128 v[4:7], v81, off
	scratch_load_b128 v[8:11], v90, off
	;; [unrolled: 1-line block ×6, first 2 shown]
	s_waitcnt vmcnt(5)
	ds_swizzle_b32 v4, v4 offset:swizzle(SWAP,1)
	ds_swizzle_b32 v0, v0 offset:swizzle(SWAP,2)
	;; [unrolled: 1-line block ×5, first 2 shown]
	s_waitcnt vmcnt(4)
	ds_swizzle_b32 v8, v8 offset:swizzle(SWAP,1)
	ds_swizzle_b32 v9, v9 offset:swizzle(SWAP,1)
	;; [unrolled: 1-line block ×7, first 2 shown]
	s_waitcnt vmcnt(3)
	ds_swizzle_b32 v12, v12 offset:swizzle(SWAP,1)
	ds_swizzle_b32 v13, v13 offset:swizzle(SWAP,1)
	;; [unrolled: 1-line block ×4, first 2 shown]
	s_waitcnt lgkmcnt(11)
	scratch_store_b128 v80, v[0:3], off
	s_clause 0x1
	scratch_load_b128 v[0:3], v85, off
	scratch_load_b128 v[28:31], v86, off
	s_waitcnt lgkmcnt(7)
	scratch_store_b128 v90, v[8:11], off
	s_waitcnt vmcnt(4)
	ds_swizzle_b32 v8, v16 offset:swizzle(SWAP,1)
	ds_swizzle_b32 v9, v17 offset:swizzle(SWAP,1)
	s_waitcnt lgkmcnt(6)
	scratch_store_b128 v81, v[4:7], off
	ds_swizzle_b32 v10, v18 offset:swizzle(SWAP,1)
	ds_swizzle_b32 v11, v19 offset:swizzle(SWAP,1)
	s_waitcnt vmcnt(3)
	ds_swizzle_b32 v16, v20 offset:swizzle(SWAP,1)
	ds_swizzle_b32 v17, v21 offset:swizzle(SWAP,1)
	;; [unrolled: 1-line block ×4, first 2 shown]
	s_waitcnt vmcnt(2)
	ds_swizzle_b32 v4, v24 offset:swizzle(SWAP,1)
	ds_swizzle_b32 v5, v25 offset:swizzle(SWAP,1)
	;; [unrolled: 1-line block ×4, first 2 shown]
	s_waitcnt lgkmcnt(12)
	scratch_store_b128 v96, v[12:15], off
	s_clause 0x3
	scratch_load_b128 v[60:63], off, off
	scratch_load_b128 v[48:51], off, off offset:48
	scratch_load_b128 v[44:47], off, off offset:64
	;; [unrolled: 1-line block ×3, first 2 shown]
	s_waitcnt lgkmcnt(8)
	scratch_store_b128 v82, v[8:11], off
	s_clause 0x1
	scratch_load_b128 v[36:39], off, off offset:96
	scratch_load_b128 v[32:35], off, off offset:112
	s_waitcnt lgkmcnt(4)
	scratch_store_b128 v83, v[16:19], off
	s_waitcnt vmcnt(7)
	ds_swizzle_b32 v0, v0 offset:swizzle(SWAP,1)
	ds_swizzle_b32 v1, v1 offset:swizzle(SWAP,1)
	ds_swizzle_b32 v2, v2 offset:swizzle(SWAP,1)
	ds_swizzle_b32 v3, v3 offset:swizzle(SWAP,1)
	s_waitcnt vmcnt(6)
	ds_swizzle_b32 v97, v28 offset:swizzle(SWAP,1)
	ds_swizzle_b32 v98, v29 offset:swizzle(SWAP,1)
	;; [unrolled: 1-line block ×4, first 2 shown]
	s_clause 0x3
	scratch_load_b128 v[56:59], off, off offset:16
	scratch_load_b128 v[52:55], off, off offset:32
	;; [unrolled: 1-line block ×4, first 2 shown]
	s_waitcnt lgkmcnt(8)
	scratch_store_b128 v84, v[4:7], off
	s_clause 0x1
	scratch_load_b128 v[20:23], off, off offset:160
	scratch_load_b128 v[16:19], off, off offset:176
	s_waitcnt lgkmcnt(4)
	scratch_store_b128 v85, v[0:3], off
	s_waitcnt lgkmcnt(0)
	scratch_store_b128 v86, v[97:100], off
	s_clause 0x3
	scratch_load_b128 v[12:15], off, off offset:192
	scratch_load_b128 v[8:11], off, off offset:208
	;; [unrolled: 1-line block ×4, first 2 shown]
	; wave barrier
	s_cbranch_scc1 .LBB80_2
	s_branch .LBB80_4
.LBB80_3:
	v_dual_mov_b32 v65, 0 :: v_dual_mov_b32 v2, 0
	v_dual_mov_b32 v3, 0 :: v_dual_mov_b32 v62, 0
	;; [unrolled: 1-line block ×3, first 2 shown]
	s_delay_alu instid0(VALU_DEP_2)
	v_dual_mov_b32 v57, v65 :: v_dual_mov_b32 v58, v62
	v_dual_mov_b32 v53, v65 :: v_dual_mov_b32 v54, v62
	;; [unrolled: 1-line block ×14, first 2 shown]
	v_mov_b32_e32 v1, v65
	v_mov_b32_e32 v61, v65
	;; [unrolled: 1-line block ×16, first 2 shown]
.LBB80_4:
	s_load_b64 s[0:1], s[0:1], 0x0
	v_lshl_or_b32 v64, s15, 12, v64
	v_mov_b32_e32 v65, 0
	s_delay_alu instid0(VALU_DEP_1) | instskip(SKIP_1) | instid1(VALU_DEP_1)
	v_lshlrev_b64 v[64:65], 4, v[64:65]
	s_waitcnt lgkmcnt(0)
	v_add_co_u32 v64, vcc_lo, s0, v64
	s_delay_alu instid0(VALU_DEP_2)
	v_add_co_ci_u32_e32 v65, vcc_lo, s1, v65, vcc_lo
	s_waitcnt vmcnt(15)
	global_store_b128 v[64:65], v[60:63], off
	s_waitcnt vmcnt(9)
	global_store_b128 v[64:65], v[56:59], off offset:16
	s_waitcnt vmcnt(8)
	s_clause 0x5
	global_store_b128 v[64:65], v[52:55], off offset:32
	global_store_b128 v[64:65], v[48:51], off offset:48
	;; [unrolled: 1-line block ×6, first 2 shown]
	s_waitcnt vmcnt(7)
	global_store_b128 v[64:65], v[28:31], off offset:128
	s_waitcnt vmcnt(6)
	global_store_b128 v[64:65], v[24:27], off offset:144
	;; [unrolled: 2-line block ×8, first 2 shown]
	s_endpgm
	.section	.rodata,"a",@progbits
	.p2align	6, 0x0
	.amdhsa_kernel _Z20warp_exchange_kernelILj256ELj16ELj16EN6common25BlockedToStripedShuffleOpEoEvPT3_j
		.amdhsa_group_segment_fixed_size 0
		.amdhsa_private_segment_fixed_size 272
		.amdhsa_kernarg_size 12
		.amdhsa_user_sgpr_count 15
		.amdhsa_user_sgpr_dispatch_ptr 0
		.amdhsa_user_sgpr_queue_ptr 0
		.amdhsa_user_sgpr_kernarg_segment_ptr 1
		.amdhsa_user_sgpr_dispatch_id 0
		.amdhsa_user_sgpr_private_segment_size 0
		.amdhsa_wavefront_size32 1
		.amdhsa_uses_dynamic_stack 0
		.amdhsa_enable_private_segment 1
		.amdhsa_system_sgpr_workgroup_id_x 1
		.amdhsa_system_sgpr_workgroup_id_y 0
		.amdhsa_system_sgpr_workgroup_id_z 0
		.amdhsa_system_sgpr_workgroup_info 0
		.amdhsa_system_vgpr_workitem_id 0
		.amdhsa_next_free_vgpr 101
		.amdhsa_next_free_sgpr 16
		.amdhsa_reserve_vcc 1
		.amdhsa_float_round_mode_32 0
		.amdhsa_float_round_mode_16_64 0
		.amdhsa_float_denorm_mode_32 3
		.amdhsa_float_denorm_mode_16_64 3
		.amdhsa_dx10_clamp 1
		.amdhsa_ieee_mode 1
		.amdhsa_fp16_overflow 0
		.amdhsa_workgroup_processor_mode 1
		.amdhsa_memory_ordered 1
		.amdhsa_forward_progress 0
		.amdhsa_shared_vgpr_count 0
		.amdhsa_exception_fp_ieee_invalid_op 0
		.amdhsa_exception_fp_denorm_src 0
		.amdhsa_exception_fp_ieee_div_zero 0
		.amdhsa_exception_fp_ieee_overflow 0
		.amdhsa_exception_fp_ieee_underflow 0
		.amdhsa_exception_fp_ieee_inexact 0
		.amdhsa_exception_int_div_zero 0
	.end_amdhsa_kernel
	.section	.text._Z20warp_exchange_kernelILj256ELj16ELj16EN6common25BlockedToStripedShuffleOpEoEvPT3_j,"axG",@progbits,_Z20warp_exchange_kernelILj256ELj16ELj16EN6common25BlockedToStripedShuffleOpEoEvPT3_j,comdat
.Lfunc_end80:
	.size	_Z20warp_exchange_kernelILj256ELj16ELj16EN6common25BlockedToStripedShuffleOpEoEvPT3_j, .Lfunc_end80-_Z20warp_exchange_kernelILj256ELj16ELj16EN6common25BlockedToStripedShuffleOpEoEvPT3_j
                                        ; -- End function
	.section	.AMDGPU.csdata,"",@progbits
; Kernel info:
; codeLenInByte = 3372
; NumSgprs: 18
; NumVgprs: 101
; ScratchSize: 272
; MemoryBound: 0
; FloatMode: 240
; IeeeMode: 1
; LDSByteSize: 0 bytes/workgroup (compile time only)
; SGPRBlocks: 2
; VGPRBlocks: 12
; NumSGPRsForWavesPerEU: 18
; NumVGPRsForWavesPerEU: 101
; Occupancy: 12
; WaveLimiterHint : 0
; COMPUTE_PGM_RSRC2:SCRATCH_EN: 1
; COMPUTE_PGM_RSRC2:USER_SGPR: 15
; COMPUTE_PGM_RSRC2:TRAP_HANDLER: 0
; COMPUTE_PGM_RSRC2:TGID_X_EN: 1
; COMPUTE_PGM_RSRC2:TGID_Y_EN: 0
; COMPUTE_PGM_RSRC2:TGID_Z_EN: 0
; COMPUTE_PGM_RSRC2:TIDIG_COMP_CNT: 0
	.section	.text._Z20warp_exchange_kernelILj256ELj16ELj32EN6common25BlockedToStripedShuffleOpEoEvPT3_j,"axG",@progbits,_Z20warp_exchange_kernelILj256ELj16ELj32EN6common25BlockedToStripedShuffleOpEoEvPT3_j,comdat
	.protected	_Z20warp_exchange_kernelILj256ELj16ELj32EN6common25BlockedToStripedShuffleOpEoEvPT3_j ; -- Begin function _Z20warp_exchange_kernelILj256ELj16ELj32EN6common25BlockedToStripedShuffleOpEoEvPT3_j
	.globl	_Z20warp_exchange_kernelILj256ELj16ELj32EN6common25BlockedToStripedShuffleOpEoEvPT3_j
	.p2align	8
	.type	_Z20warp_exchange_kernelILj256ELj16ELj32EN6common25BlockedToStripedShuffleOpEoEvPT3_j,@function
_Z20warp_exchange_kernelILj256ELj16ELj32EN6common25BlockedToStripedShuffleOpEoEvPT3_j: ; @_Z20warp_exchange_kernelILj256ELj16ELj32EN6common25BlockedToStripedShuffleOpEoEvPT3_j
; %bb.0:
	s_load_b32 s2, s[0:1], 0x8
	v_dual_mov_b32 v65, 0 :: v_dual_lshlrev_b32 v64, 4, v0
	s_delay_alu instid0(VALU_DEP_1)
	v_or_b32_e32 v60, 1, v64
	v_or_b32_e32 v28, 2, v64
	;; [unrolled: 1-line block ×15, first 2 shown]
	s_waitcnt lgkmcnt(0)
	s_cmp_eq_u32 s2, 0
	s_cbranch_scc1 .LBB81_4
; %bb.1:
	v_mbcnt_lo_u32_b32 v2, -1, 0
	v_mov_b32_e32 v58, 0
	v_dual_mov_b32 v59, 0 :: v_dual_mov_b32 v22, 0
	v_mov_b32_e32 v23, 0
	s_delay_alu instid0(VALU_DEP_4)
	v_and_b32_e32 v3, 3, v2
	v_add_nc_u32_e32 v5, -1, v2
	v_mov_b32_e32 v41, v65
	v_mov_b32_e32 v33, v65
	;; [unrolled: 1-line block ×3, first 2 shown]
	v_xor_b32_e32 v6, 2, v3
	v_dual_mov_b32 v42, v22 :: v_dual_mov_b32 v21, v65
	v_dual_mov_b32 v35, v23 :: v_dual_and_b32 v10, 3, v5
	s_delay_alu instid0(VALU_DEP_3) | instskip(SKIP_2) | instid1(VALU_DEP_4)
	v_add_nc_u32_e32 v7, 3, v6
	v_mov_b32_e32 v13, v65
	v_lshl_add_u32 v67, v6, 4, 0
	v_lshl_add_u32 v66, v10, 4, 0
	v_add_nc_u32_e32 v10, 20, v2
	v_and_b32_e32 v14, 3, v7
	v_dual_mov_b32 v34, v22 :: v_dual_lshlrev_b32 v7, 4, v7
	v_mov_b32_e32 v51, v23
	v_mov_b32_e32 v45, v65
	s_delay_alu instid0(VALU_DEP_4) | instskip(NEXT) | instid1(VALU_DEP_4)
	v_lshl_add_u32 v68, v14, 4, 0
	v_or_b32_e32 v6, 0xc0, v7
	v_mov_b32_e32 v14, v22
	v_lshl_add_u32 v5, v3, 4, 0
	v_or_b32_e32 v3, 64, v7
	v_dual_mov_b32 v50, v22 :: v_dual_add_nc_u32 v7, 24, v2
	v_dual_mov_b32 v9, v65 :: v_dual_add_nc_u32 v70, 0, v6
	s_delay_alu instid0(VALU_DEP_3) | instskip(NEXT) | instid1(VALU_DEP_3)
	v_dual_mov_b32 v18, v22 :: v_dual_add_nc_u32 v69, 0, v3
	v_and_b32_e32 v3, 31, v7
	v_and_b32_e32 v6, 31, v10
	v_add_nc_u32_e32 v7, 12, v2
	v_dual_mov_b32 v49, v65 :: v_dual_add_nc_u32 v10, 8, v2
	s_delay_alu instid0(VALU_DEP_4)
	v_dual_mov_b32 v37, v65 :: v_dual_lshlrev_b32 v72, 2, v3
	v_mov_b32_e32 v17, v65
	v_add_nc_u32_e32 v11, 28, v2
	v_dual_mov_b32 v54, v65 :: v_dual_lshlrev_b32 v73, 2, v6
	v_dual_mov_b32 v30, v65 :: v_dual_lshlrev_b32 v3, 2, v2
	v_and_b32_e32 v6, 31, v7
	v_dual_mov_b32 v62, v65 :: v_dual_and_b32 v7, 31, v10
	v_add_nc_u32_e32 v10, 4, v2
	v_lshrrev_b32_e32 v2, 2, v2
	s_delay_alu instid0(VALU_DEP_3)
	v_dual_mov_b32 v1, v65 :: v_dual_lshlrev_b32 v76, 2, v7
	v_xor_b32_e32 v74, 64, v3
	v_dual_mov_b32 v56, v64 :: v_dual_lshlrev_b32 v75, 2, v6
	v_and_b32_e32 v3, 31, v10
	v_dual_mov_b32 v15, v23 :: v_dual_add_nc_u32 v6, -1, v2
	v_add_nc_u32_e32 v7, 6, v2
	v_xor_b32_e32 v10, 4, v2
	s_delay_alu instid0(VALU_DEP_4) | instskip(NEXT) | instid1(VALU_DEP_4)
	v_lshlrev_b32_e32 v77, 2, v3
	v_and_b32_e32 v3, 7, v6
	s_delay_alu instid0(VALU_DEP_4) | instskip(NEXT) | instid1(VALU_DEP_4)
	v_dual_mov_b32 v47, v23 :: v_dual_and_b32 v6, 7, v7
	v_dual_mov_b32 v46, v22 :: v_dual_add_nc_u32 v7, 7, v10
	v_and_b32_e32 v11, 31, v11
	s_delay_alu instid0(VALU_DEP_4) | instskip(NEXT) | instid1(VALU_DEP_4)
	v_lshl_add_u32 v79, v3, 4, 0x100
	v_lshl_add_u32 v80, v6, 4, 0x100
	v_add_nc_u32_e32 v6, 5, v10
	v_add_nc_u32_e32 v3, 6, v10
	v_lshl_add_u32 v82, v10, 4, 0x100
	v_mov_b32_e32 v39, v23
	v_lshl_add_u32 v78, v2, 4, 0x100
	v_and_b32_e32 v10, 7, v6
	v_dual_mov_b32 v38, v22 :: v_dual_lshlrev_b32 v71, 2, v11
	v_dual_mov_b32 v26, v65 :: v_dual_add_nc_u32 v11, 5, v2
	v_dual_mov_b32 v19, v23 :: v_dual_and_b32 v2, 7, v7
	v_lshl_or_b32 v6, v6, 4, 0x80
	v_lshl_add_u32 v87, v10, 4, 0x100
	s_delay_alu instid0(VALU_DEP_4) | instskip(NEXT) | instid1(VALU_DEP_4)
	v_and_b32_e32 v11, 7, v11
	v_lshl_add_u32 v83, v2, 4, 0x100
	v_lshl_or_b32 v2, v7, 4, 0x80
	v_and_b32_e32 v7, 7, v3
	v_lshl_or_b32 v3, v3, 4, 0x80
	v_lshl_add_u32 v81, v11, 4, 0x100
	v_mov_b32_e32 v10, v22
	v_add_nc_u32_e32 v84, 0x100, v2
	v_lshl_add_u32 v85, v7, 4, 0x100
	v_dual_mov_b32 v7, v65 :: v_dual_add_nc_u32 v86, 0x100, v3
	v_dual_mov_b32 v25, v65 :: v_dual_mov_b32 v2, v22
	v_dual_mov_b32 v27, v65 :: v_dual_add_nc_u32 v88, 0x100, v6
	v_dual_mov_b32 v11, v23 :: v_dual_mov_b32 v6, v65
	v_mov_b32_e32 v3, v23
	v_mov_b32_e32 v53, v65
	;; [unrolled: 1-line block ×8, first 2 shown]
.LBB81_2:                               ; =>This Inner Loop Header: Depth=1
	s_waitcnt lgkmcnt(50)
	scratch_store_b128 off, v[36:39], off offset:128
	s_waitcnt lgkmcnt(8)
	scratch_store_b128 off, v[44:47], off offset:176
	;; [unrolled: 2-line block ×3, first 2 shown]
	scratch_load_b64 v[22:23], off, off offset:184
	s_waitcnt vmcnt(1)
	v_mov_b32_dpp v36, v60 quad_perm:[3,0,1,2] row_mask:0xf bank_mask:0xf
	v_mov_b32_dpp v37, v61 quad_perm:[3,0,1,2] row_mask:0xf bank_mask:0xf
	scratch_load_b64 v[60:61], off, off offset:248
	v_mov_b32_dpp v48, v48 quad_perm:[3,0,1,2] row_mask:0xf bank_mask:0xf
	v_mov_b32_dpp v49, v49 quad_perm:[3,0,1,2] row_mask:0xf bank_mask:0xf
	v_mov_b32_dpp v50, v50 quad_perm:[3,0,1,2] row_mask:0xf bank_mask:0xf
	v_mov_b32_dpp v51, v51 quad_perm:[3,0,1,2] row_mask:0xf bank_mask:0xf
	v_mov_b32_dpp v32, v32 quad_perm:[2,3,0,1] row_mask:0xf bank_mask:0xf
	v_mov_b32_dpp v33, v33 quad_perm:[2,3,0,1] row_mask:0xf bank_mask:0xf
	v_mov_b32_dpp v34, v34 quad_perm:[2,3,0,1] row_mask:0xf bank_mask:0xf
	v_mov_b32_dpp v35, v35 quad_perm:[2,3,0,1] row_mask:0xf bank_mask:0xf
	v_mov_b32_dpp v44, v44 quad_perm:[1,2,3,0] row_mask:0xf bank_mask:0xf
	v_mov_b32_dpp v45, v45 quad_perm:[1,2,3,0] row_mask:0xf bank_mask:0xf
	v_mov_b32_dpp v40, v40 quad_perm:[3,0,1,2] row_mask:0xf bank_mask:0xf
	v_mov_b32_dpp v41, v41 quad_perm:[3,0,1,2] row_mask:0xf bank_mask:0xf
	v_mov_b32_dpp v42, v42 quad_perm:[3,0,1,2] row_mask:0xf bank_mask:0xf
	v_mov_b32_dpp v43, v43 quad_perm:[3,0,1,2] row_mask:0xf bank_mask:0xf
	v_mov_b32_dpp v12, v12 quad_perm:[2,3,0,1] row_mask:0xf bank_mask:0xf
	v_mov_b32_dpp v13, v13 quad_perm:[2,3,0,1] row_mask:0xf bank_mask:0xf
	v_mov_b32_dpp v14, v14 quad_perm:[2,3,0,1] row_mask:0xf bank_mask:0xf
	v_mov_b32_dpp v15, v15 quad_perm:[2,3,0,1] row_mask:0xf bank_mask:0xf
	v_mov_b32_dpp v20, v20 quad_perm:[1,2,3,0] row_mask:0xf bank_mask:0xf
	v_mov_b32_dpp v21, v21 quad_perm:[1,2,3,0] row_mask:0xf bank_mask:0xf
	s_clause 0x1
	scratch_store_b128 off, v[48:51], off offset:144
	scratch_store_b128 off, v[32:35], off offset:160
	v_mov_b32_dpp v28, v28 quad_perm:[2,3,0,1] row_mask:0xf bank_mask:0xf
	v_mov_b32_dpp v29, v29 quad_perm:[2,3,0,1] row_mask:0xf bank_mask:0xf
	v_mov_b32_dpp v30, v30 quad_perm:[2,3,0,1] row_mask:0xf bank_mask:0xf
	v_mov_b32_dpp v31, v31 quad_perm:[2,3,0,1] row_mask:0xf bank_mask:0xf
	v_mov_b32_dpp v38, v62 quad_perm:[3,0,1,2] row_mask:0xf bank_mask:0xf
	v_mov_b32_dpp v39, v63 quad_perm:[3,0,1,2] row_mask:0xf bank_mask:0xf
	v_mov_b32_dpp v52, v52 quad_perm:[1,2,3,0] row_mask:0xf bank_mask:0xf
	v_mov_b32_dpp v53, v53 quad_perm:[1,2,3,0] row_mask:0xf bank_mask:0xf
	v_mov_b32_dpp v54, v54 quad_perm:[1,2,3,0] row_mask:0xf bank_mask:0xf
	v_mov_b32_dpp v55, v55 quad_perm:[1,2,3,0] row_mask:0xf bank_mask:0xf
	v_mov_b32_dpp v24, v24 quad_perm:[3,0,1,2] row_mask:0xf bank_mask:0xf
	v_mov_b32_dpp v25, v25 quad_perm:[3,0,1,2] row_mask:0xf bank_mask:0xf
	v_mov_b32_dpp v26, v26 quad_perm:[3,0,1,2] row_mask:0xf bank_mask:0xf
	v_mov_b32_dpp v27, v27 quad_perm:[3,0,1,2] row_mask:0xf bank_mask:0xf
	v_mov_b32_dpp v16, v16 quad_perm:[1,2,3,0] row_mask:0xf bank_mask:0xf
	v_mov_b32_dpp v17, v17 quad_perm:[1,2,3,0] row_mask:0xf bank_mask:0xf
	v_mov_b32_dpp v18, v18 quad_perm:[1,2,3,0] row_mask:0xf bank_mask:0xf
	v_mov_b32_dpp v19, v19 quad_perm:[1,2,3,0] row_mask:0xf bank_mask:0xf
	s_add_i32 s2, s2, -1
	s_delay_alu instid0(SALU_CYCLE_1)
	s_cmp_eq_u32 s2, 0
	s_waitcnt vmcnt(1)
	v_mov_b32_dpp v46, v22 quad_perm:[1,2,3,0] row_mask:0xf bank_mask:0xf
	v_mov_b32_dpp v47, v23 quad_perm:[1,2,3,0] row_mask:0xf bank_mask:0xf
	s_clause 0x1
	scratch_store_b128 off, v[8:11], off offset:192
	scratch_store_b128 off, v[44:47], off offset:176
	s_waitcnt vmcnt(0)
	v_mov_b32_dpp v22, v60 quad_perm:[1,2,3,0] row_mask:0xf bank_mask:0xf
	v_mov_b32_dpp v23, v61 quad_perm:[1,2,3,0] row_mask:0xf bank_mask:0xf
	scratch_load_b128 v[8:11], v66, off offset:128
	s_clause 0x2
	scratch_store_b128 off, v[40:43], off offset:208
	scratch_store_b128 off, v[12:15], off offset:224
	;; [unrolled: 1-line block ×3, first 2 shown]
	scratch_load_b128 v[12:15], v66, off offset:192
	s_clause 0x3
	scratch_store_b128 off, v[56:59], off
	scratch_store_b128 off, v[36:39], off offset:16
	scratch_store_b128 off, v[28:31], off offset:32
	;; [unrolled: 1-line block ×3, first 2 shown]
	v_mov_b32_dpp v28, v4 quad_perm:[2,3,0,1] row_mask:0xf bank_mask:0xf
	v_mov_b32_dpp v29, v65 quad_perm:[2,3,0,1] row_mask:0xf bank_mask:0xf
	;; [unrolled: 1-line block ×4, first 2 shown]
	scratch_load_b128 v[20:23], v67, off
	s_clause 0x3
	scratch_store_b128 off, v[0:3], off offset:64
	scratch_store_b128 off, v[24:27], off offset:80
	;; [unrolled: 1-line block ×4, first 2 shown]
	scratch_load_b128 v[0:3], v67, off offset:64
	s_waitcnt vmcnt(3)
	v_mov_b32_dpp v6, v8 quad_perm:[1,2,3,0] row_mask:0xf bank_mask:0xf
	v_mov_b32_dpp v7, v9 quad_perm:[1,2,3,0] row_mask:0xf bank_mask:0xf
	;; [unrolled: 1-line block ×3, first 2 shown]
	s_waitcnt vmcnt(2)
	scratch_store_b128 off, v[12:15], off offset:368
	v_mov_b32_dpp v9, v11 quad_perm:[1,2,3,0] row_mask:0xf bank_mask:0xf
	scratch_load_b128 v[10:13], off, off offset:368
	s_waitcnt vmcnt(2)
	scratch_store_b128 off, v[20:23], off offset:384
	scratch_load_b128 v[14:17], off, off offset:384
	s_waitcnt vmcnt(1)
	v_mov_b32_dpp v10, v10 quad_perm:[1,2,3,0] row_mask:0xf bank_mask:0xf
	v_mov_b32_dpp v11, v11 quad_perm:[1,2,3,0] row_mask:0xf bank_mask:0xf
	;; [unrolled: 1-line block ×4, first 2 shown]
	scratch_store_b128 off, v[0:3], off offset:400
	scratch_load_b128 v[0:3], v67, off offset:128
	scratch_load_b128 v[18:21], off, off offset:400
	s_waitcnt vmcnt(2)
	v_mov_b32_dpp v14, v14 quad_perm:[2,3,0,1] row_mask:0xf bank_mask:0xf
	scratch_store_b128 off, v[10:13], off offset:368
	scratch_load_b128 v[10:13], off, off offset:368
	s_clause 0x9
	scratch_load_b128 v[22:25], v5, off offset:64
	scratch_load_b128 v[26:29], v66, off
	scratch_load_b128 v[30:33], v66, off offset:64
	scratch_load_b128 v[34:37], v68, off
	scratch_load_b128 v[38:41], v5, off offset:128
	scratch_load_b128 v[42:45], v68, off offset:128
	scratch_load_b128 v[46:49], v70, off
	scratch_load_b128 v[50:53], v69, off
	scratch_load_b128 v[54:57], v5, off offset:192
	scratch_load_b128 v[58:61], v67, off offset:192
	v_mov_b32_dpp v15, v15 quad_perm:[2,3,0,1] row_mask:0xf bank_mask:0xf
	v_mov_b32_dpp v16, v16 quad_perm:[2,3,0,1] row_mask:0xf bank_mask:0xf
	;; [unrolled: 1-line block ×3, first 2 shown]
	s_waitcnt vmcnt(10)
	ds_bpermute_b32 v10, v77, v10
	s_waitcnt vmcnt(9)
	scratch_store_b128 off, v[22:25], off offset:272
	s_waitcnt vmcnt(8)
	v_mov_b32_dpp v22, v26 quad_perm:[1,2,3,0] row_mask:0xf bank_mask:0xf
	v_mov_b32_dpp v23, v27 quad_perm:[1,2,3,0] row_mask:0xf bank_mask:0xf
	;; [unrolled: 1-line block ×4, first 2 shown]
	scratch_store_b128 off, v[0:3], off offset:416
	v_mov_b32_dpp v0, v18 quad_perm:[2,3,0,1] row_mask:0xf bank_mask:0xf
	v_mov_b32_dpp v1, v19 quad_perm:[2,3,0,1] row_mask:0xf bank_mask:0xf
	;; [unrolled: 1-line block ×4, first 2 shown]
	scratch_load_b128 v[18:21], off, off offset:416
	s_waitcnt vmcnt(8)
	v_mov_b32_dpp v26, v30 quad_perm:[1,2,3,0] row_mask:0xf bank_mask:0xf
	v_mov_b32_dpp v27, v31 quad_perm:[1,2,3,0] row_mask:0xf bank_mask:0xf
	;; [unrolled: 1-line block ×3, first 2 shown]
	scratch_store_b128 off, v[0:3], off offset:400
	v_mov_b32_dpp v29, v33 quad_perm:[1,2,3,0] row_mask:0xf bank_mask:0xf
	s_clause 0x1
	scratch_load_b128 v[0:3], off, off offset:400
	scratch_load_b128 v[89:92], off, off offset:272
	s_clause 0x1
	scratch_store_b128 off, v[22:25], off offset:320
	scratch_store_b128 off, v[26:29], off offset:336
	scratch_load_b128 v[22:25], off, off offset:336
	s_waitcnt vmcnt(9)
	scratch_store_b128 off, v[38:41], off offset:288
	s_waitcnt vmcnt(8)
	scratch_store_b128 off, v[42:45], off offset:480
	;; [unrolled: 2-line block ×3, first 2 shown]
	s_clause 0x1
	scratch_load_b32 v4, off, off offset:508
	scratch_load_b128 v[26:29], off, off offset:288
	s_waitcnt vmcnt(8)
	scratch_store_b128 off, v[50:53], off offset:464
	s_waitcnt vmcnt(7)
	scratch_store_b128 off, v[54:57], off offset:304
	;; [unrolled: 2-line block ×3, first 2 shown]
	v_mov_b32_dpp v30, v34 quad_perm:[3,0,1,2] row_mask:0xf bank_mask:0xf
	v_mov_b32_dpp v31, v35 quad_perm:[3,0,1,2] row_mask:0xf bank_mask:0xf
	;; [unrolled: 1-line block ×4, first 2 shown]
	scratch_load_b128 v[34:37], off, off offset:304
	v_mov_b32_dpp v38, v50 quad_perm:[3,0,1,2] row_mask:0xf bank_mask:0xf
	v_mov_b32_dpp v39, v51 quad_perm:[3,0,1,2] row_mask:0xf bank_mask:0xf
	v_mov_b32_dpp v40, v52 quad_perm:[3,0,1,2] row_mask:0xf bank_mask:0xf
	s_clause 0x3
	scratch_load_b128 v[49:52], off, off offset:320
	scratch_load_b32 v61, off, off offset:476
	scratch_load_b32 v62, off, off offset:492
	scratch_load_b128 v[53:56], off, off offset:432
	scratch_store_b128 off, v[30:33], off offset:448
	v_mov_b32_dpp v30, v42 quad_perm:[3,0,1,2] row_mask:0xf bank_mask:0xf
	v_mov_b32_dpp v31, v43 quad_perm:[3,0,1,2] row_mask:0xf bank_mask:0xf
	;; [unrolled: 1-line block ×6, first 2 shown]
	scratch_load_b128 v[57:60], v5, off
	ds_bpermute_b32 v11, v77, v11
	ds_bpermute_b32 v12, v77, v12
	;; [unrolled: 1-line block ×3, first 2 shown]
	scratch_store_b128 off, v[6:9], off offset:352
	scratch_load_b128 v[6:9], off, off offset:352
	s_waitcnt vmcnt(12)
	v_mov_b32_dpp v18, v18 quad_perm:[2,3,0,1] row_mask:0xf bank_mask:0xf
	v_mov_b32_dpp v19, v19 quad_perm:[2,3,0,1] row_mask:0xf bank_mask:0xf
	;; [unrolled: 1-line block ×4, first 2 shown]
	s_waitcnt vmcnt(11)
	ds_bpermute_b32 v0, v71, v0
	s_waitcnt vmcnt(10)
	ds_bpermute_b32 v45, v71, v89
	scratch_store_b128 off, v[18:21], off offset:416
	scratch_load_b128 v[18:21], off, off offset:416
	ds_bpermute_b32 v46, v71, v90
	s_waitcnt vmcnt(9)
	v_mov_b32_dpp v44, v4 quad_perm:[3,0,1,2] row_mask:0xf bank_mask:0xf
	ds_bpermute_b32 v47, v71, v91
	ds_bpermute_b32 v48, v71, v92
	s_waitcnt vmcnt(8)
	ds_bpermute_b32 v26, v72, v26
	ds_bpermute_b32 v27, v72, v27
	scratch_store_b128 off, v[41:44], off offset:496
	scratch_load_b128 v[89:92], off, off offset:496
	ds_bpermute_b32 v28, v72, v28
	ds_bpermute_b32 v29, v72, v29
	s_waitcnt vmcnt(8)
	ds_bpermute_b32 v34, v73, v34
	ds_bpermute_b32 v35, v73, v35
	;; [unrolled: 1-line block ×3, first 2 shown]
	s_waitcnt vmcnt(6)
	v_mov_b32_dpp v41, v61 quad_perm:[3,0,1,2] row_mask:0xf bank_mask:0xf
	s_waitcnt vmcnt(5)
	v_mov_b32_dpp v33, v62 quad_perm:[3,0,1,2] row_mask:0xf bank_mask:0xf
	;; [unrolled: 2-line block ×3, first 2 shown]
	v_mov_b32_dpp v54, v54 quad_perm:[2,3,0,1] row_mask:0xf bank_mask:0xf
	v_mov_b32_dpp v55, v55 quad_perm:[2,3,0,1] row_mask:0xf bank_mask:0xf
	;; [unrolled: 1-line block ×3, first 2 shown]
	s_clause 0x1
	scratch_store_b128 off, v[38:41], off offset:464
	scratch_store_b128 off, v[30:33], off offset:480
	s_clause 0x2
	scratch_load_b128 v[30:33], off, off offset:464
	scratch_load_b128 v[38:41], off, off offset:480
	;; [unrolled: 1-line block ×3, first 2 shown]
	ds_bpermute_b32 v37, v73, v37
	scratch_store_b128 off, v[53:56], off offset:432
	scratch_load_b128 v[53:56], off, off offset:432
	ds_bpermute_b32 v49, v74, v49
	ds_bpermute_b32 v50, v74, v50
	;; [unrolled: 1-line block ×11, first 2 shown]
	s_waitcnt vmcnt(6)
	ds_bpermute_b32 v6, v76, v6
	ds_bpermute_b32 v7, v76, v7
	;; [unrolled: 1-line block ×4, first 2 shown]
	scratch_store_b128 off, v[57:60], off offset:256
	s_waitcnt lgkmcnt(23)
	scratch_store_b128 off, v[45:48], off offset:272
	s_waitcnt lgkmcnt(19)
	;; [unrolled: 2-line block ×6, first 2 shown]
	s_clause 0x1
	scratch_store_b128 off, v[6:9], off offset:352
	scratch_store_b128 off, v[10:13], off offset:368
	s_waitcnt vmcnt(5)
	ds_bpermute_b32 v18, v72, v18
	ds_bpermute_b32 v19, v72, v19
	ds_bpermute_b32 v20, v72, v20
	ds_bpermute_b32 v21, v72, v21
	s_waitcnt vmcnt(4)
	ds_bpermute_b32 v6, v77, v89
	ds_bpermute_b32 v7, v77, v90
	ds_bpermute_b32 v8, v77, v91
	ds_bpermute_b32 v9, v77, v92
	;; [unrolled: 5-line block ×5, first 2 shown]
	ds_bpermute_b32 v40, v74, v93
	ds_bpermute_b32 v41, v74, v94
	;; [unrolled: 1-line block ×4, first 2 shown]
	s_clause 0x4
	scratch_load_b128 v[10:13], v79, off
	scratch_load_b128 v[32:35], v80, off
	;; [unrolled: 1-line block ×5, first 2 shown]
	scratch_store_b128 off, v[14:17], off offset:384
	s_waitcnt lgkmcnt(16)
	scratch_store_b128 off, v[6:9], off offset:496
	s_clause 0x1
	scratch_load_b128 v[14:17], v85, off
	scratch_load_b128 v[56:59], v87, off
	s_waitcnt lgkmcnt(12)
	scratch_store_b128 off, v[22:25], off offset:464
	s_waitcnt lgkmcnt(8)
	s_clause 0x2
	scratch_store_b128 off, v[26:29], off offset:480
	scratch_store_b128 off, v[0:3], off offset:400
	;; [unrolled: 1-line block ×3, first 2 shown]
	s_waitcnt lgkmcnt(4)
	scratch_store_b128 off, v[36:39], off offset:432
	s_waitcnt lgkmcnt(0)
	scratch_store_b128 off, v[40:43], off offset:448
	s_clause 0x6
	scratch_load_b128 v[18:21], v79, off offset:128
	scratch_load_b128 v[24:27], v80, off offset:128
	;; [unrolled: 1-line block ×4, first 2 shown]
	scratch_load_b128 v[89:92], v84, off
	scratch_load_b128 v[93:96], v86, off
	;; [unrolled: 1-line block ×3, first 2 shown]
	s_waitcnt vmcnt(13)
	ds_bpermute_b32 v30, v77, v12
	ds_bpermute_b32 v31, v77, v13
	s_waitcnt vmcnt(10)
	ds_bpermute_b32 v36, v74, v48
	ds_bpermute_b32 v37, v74, v49
	;; [unrolled: 1-line block ×4, first 2 shown]
	s_waitcnt vmcnt(8)
	ds_bpermute_b32 v8, v72, v14
	ds_bpermute_b32 v9, v72, v15
	s_waitcnt vmcnt(7)
	ds_bpermute_b32 v12, v71, v56
	ds_bpermute_b32 v13, v71, v57
	ds_bpermute_b32 v14, v71, v58
	ds_bpermute_b32 v15, v71, v59
	ds_bpermute_b32 v28, v77, v10
	s_waitcnt vmcnt(3)
	ds_bpermute_b32 v48, v74, v60
	ds_bpermute_b32 v49, v74, v61
	;; [unrolled: 1-line block ×4, first 2 shown]
	s_clause 0x1
	scratch_load_b128 v[56:59], v78, off
	scratch_load_b128 v[60:63], v78, off offset:128
	ds_bpermute_b32 v29, v77, v11
	ds_bpermute_b32 v0, v76, v32
	;; [unrolled: 1-line block ×27, first 2 shown]
	s_waitcnt vmcnt(4)
	ds_bpermute_b32 v44, v73, v89
	ds_bpermute_b32 v45, v73, v90
	ds_bpermute_b32 v46, v73, v91
	ds_bpermute_b32 v47, v73, v92
	s_waitcnt vmcnt(3)
	ds_bpermute_b32 v40, v72, v93
	ds_bpermute_b32 v41, v72, v94
	ds_bpermute_b32 v42, v72, v95
	ds_bpermute_b32 v43, v72, v96
	;; [unrolled: 5-line block ×3, first 2 shown]
	; wave barrier
	s_cbranch_scc0 .LBB81_2
; %bb.3:
	s_waitcnt lgkmcnt(32)
	v_mov_b32_e32 v5, v65
	s_branch .LBB81_5
.LBB81_4:
	v_mov_b32_e32 v22, 0
	v_dual_mov_b32 v23, 0 :: v_dual_mov_b32 v58, 0
	v_mov_b32_e32 v59, 0
	v_dual_mov_b32 v61, v65 :: v_dual_mov_b32 v56, v64
	s_delay_alu instid0(VALU_DEP_3)
	v_dual_mov_b32 v53, v65 :: v_dual_mov_b32 v30, v58
	v_dual_mov_b32 v1, v65 :: v_dual_mov_b32 v54, v58
	;; [unrolled: 1-line block ×13, first 2 shown]
	v_mov_b32_e32 v63, v59
	v_dual_mov_b32 v29, v65 :: v_dual_mov_b32 v62, v58
	v_mov_b32_e32 v57, v65
	v_mov_b32_e32 v31, v59
	;; [unrolled: 1-line block ×14, first 2 shown]
.LBB81_5:
	s_load_b64 s[0:1], s[0:1], 0x0
	v_lshl_or_b32 v64, s15, 12, v64
	v_mov_b32_e32 v65, 0
	s_delay_alu instid0(VALU_DEP_1) | instskip(SKIP_1) | instid1(VALU_DEP_1)
	v_lshlrev_b64 v[64:65], 4, v[64:65]
	s_waitcnt lgkmcnt(0)
	v_add_co_u32 v64, vcc_lo, s0, v64
	s_delay_alu instid0(VALU_DEP_2)
	v_add_co_ci_u32_e32 v65, vcc_lo, s1, v65, vcc_lo
	s_waitcnt vmcnt(1)
	global_store_b128 v[64:65], v[56:59], off
	s_waitcnt vmcnt(0)
	s_clause 0xe
	global_store_b128 v[64:65], v[60:63], off offset:16
	global_store_b128 v[64:65], v[28:31], off offset:32
	;; [unrolled: 1-line block ×15, first 2 shown]
	s_endpgm
	.section	.rodata,"a",@progbits
	.p2align	6, 0x0
	.amdhsa_kernel _Z20warp_exchange_kernelILj256ELj16ELj32EN6common25BlockedToStripedShuffleOpEoEvPT3_j
		.amdhsa_group_segment_fixed_size 0
		.amdhsa_private_segment_fixed_size 528
		.amdhsa_kernarg_size 12
		.amdhsa_user_sgpr_count 15
		.amdhsa_user_sgpr_dispatch_ptr 0
		.amdhsa_user_sgpr_queue_ptr 0
		.amdhsa_user_sgpr_kernarg_segment_ptr 1
		.amdhsa_user_sgpr_dispatch_id 0
		.amdhsa_user_sgpr_private_segment_size 0
		.amdhsa_wavefront_size32 1
		.amdhsa_uses_dynamic_stack 0
		.amdhsa_enable_private_segment 1
		.amdhsa_system_sgpr_workgroup_id_x 1
		.amdhsa_system_sgpr_workgroup_id_y 0
		.amdhsa_system_sgpr_workgroup_id_z 0
		.amdhsa_system_sgpr_workgroup_info 0
		.amdhsa_system_vgpr_workitem_id 0
		.amdhsa_next_free_vgpr 101
		.amdhsa_next_free_sgpr 16
		.amdhsa_reserve_vcc 1
		.amdhsa_float_round_mode_32 0
		.amdhsa_float_round_mode_16_64 0
		.amdhsa_float_denorm_mode_32 3
		.amdhsa_float_denorm_mode_16_64 3
		.amdhsa_dx10_clamp 1
		.amdhsa_ieee_mode 1
		.amdhsa_fp16_overflow 0
		.amdhsa_workgroup_processor_mode 1
		.amdhsa_memory_ordered 1
		.amdhsa_forward_progress 0
		.amdhsa_shared_vgpr_count 0
		.amdhsa_exception_fp_ieee_invalid_op 0
		.amdhsa_exception_fp_denorm_src 0
		.amdhsa_exception_fp_ieee_div_zero 0
		.amdhsa_exception_fp_ieee_overflow 0
		.amdhsa_exception_fp_ieee_underflow 0
		.amdhsa_exception_fp_ieee_inexact 0
		.amdhsa_exception_int_div_zero 0
	.end_amdhsa_kernel
	.section	.text._Z20warp_exchange_kernelILj256ELj16ELj32EN6common25BlockedToStripedShuffleOpEoEvPT3_j,"axG",@progbits,_Z20warp_exchange_kernelILj256ELj16ELj32EN6common25BlockedToStripedShuffleOpEoEvPT3_j,comdat
.Lfunc_end81:
	.size	_Z20warp_exchange_kernelILj256ELj16ELj32EN6common25BlockedToStripedShuffleOpEoEvPT3_j, .Lfunc_end81-_Z20warp_exchange_kernelILj256ELj16ELj32EN6common25BlockedToStripedShuffleOpEoEvPT3_j
                                        ; -- End function
	.section	.AMDGPU.csdata,"",@progbits
; Kernel info:
; codeLenInByte = 3980
; NumSgprs: 18
; NumVgprs: 101
; ScratchSize: 528
; MemoryBound: 0
; FloatMode: 240
; IeeeMode: 1
; LDSByteSize: 0 bytes/workgroup (compile time only)
; SGPRBlocks: 2
; VGPRBlocks: 12
; NumSGPRsForWavesPerEU: 18
; NumVGPRsForWavesPerEU: 101
; Occupancy: 12
; WaveLimiterHint : 1
; COMPUTE_PGM_RSRC2:SCRATCH_EN: 1
; COMPUTE_PGM_RSRC2:USER_SGPR: 15
; COMPUTE_PGM_RSRC2:TRAP_HANDLER: 0
; COMPUTE_PGM_RSRC2:TGID_X_EN: 1
; COMPUTE_PGM_RSRC2:TGID_Y_EN: 0
; COMPUTE_PGM_RSRC2:TGID_Z_EN: 0
; COMPUTE_PGM_RSRC2:TIDIG_COMP_CNT: 0
	.section	.text._Z20warp_exchange_kernelILj256ELj1ELj16EN6common25StripedToBlockedShuffleOpEoEvPT3_j,"axG",@progbits,_Z20warp_exchange_kernelILj256ELj1ELj16EN6common25StripedToBlockedShuffleOpEoEvPT3_j,comdat
	.protected	_Z20warp_exchange_kernelILj256ELj1ELj16EN6common25StripedToBlockedShuffleOpEoEvPT3_j ; -- Begin function _Z20warp_exchange_kernelILj256ELj1ELj16EN6common25StripedToBlockedShuffleOpEoEvPT3_j
	.globl	_Z20warp_exchange_kernelILj256ELj1ELj16EN6common25StripedToBlockedShuffleOpEoEvPT3_j
	.p2align	8
	.type	_Z20warp_exchange_kernelILj256ELj1ELj16EN6common25StripedToBlockedShuffleOpEoEvPT3_j,@function
_Z20warp_exchange_kernelILj256ELj1ELj16EN6common25StripedToBlockedShuffleOpEoEvPT3_j: ; @_Z20warp_exchange_kernelILj256ELj1ELj16EN6common25StripedToBlockedShuffleOpEoEvPT3_j
; %bb.0:
	s_load_b32 s2, s[0:1], 0x8
	s_waitcnt lgkmcnt(0)
	s_cmp_eq_u32 s2, 0
	s_cbranch_scc1 .LBB82_3
; %bb.1:
	v_mbcnt_lo_u32_b32 v3, -1, 0
	v_dual_mov_b32 v4, 0 :: v_dual_mov_b32 v1, v0
	s_delay_alu instid0(VALU_DEP_2)
	v_dual_mov_b32 v2, 0 :: v_dual_lshlrev_b32 v5, 2, v3
	v_mov_b32_e32 v3, 0
.LBB82_2:                               ; =>This Inner Loop Header: Depth=1
	s_waitcnt lgkmcnt(3)
	ds_bpermute_b32 v1, v5, v1
	s_waitcnt lgkmcnt(3)
	ds_bpermute_b32 v2, v5, v2
	;; [unrolled: 2-line block ×4, first 2 shown]
	s_add_i32 s2, s2, -1
	s_delay_alu instid0(SALU_CYCLE_1)
	s_cmp_lg_u32 s2, 0
	; wave barrier
	s_cbranch_scc1 .LBB82_2
	s_branch .LBB82_4
.LBB82_3:
	v_dual_mov_b32 v4, 0 :: v_dual_mov_b32 v1, v0
	v_dual_mov_b32 v2, 0 :: v_dual_mov_b32 v3, 0
.LBB82_4:
	s_load_b64 s[0:1], s[0:1], 0x0
	v_lshl_or_b32 v5, s15, 8, v0
	v_mov_b32_e32 v6, 0
	s_delay_alu instid0(VALU_DEP_1) | instskip(SKIP_1) | instid1(VALU_DEP_1)
	v_lshlrev_b64 v[5:6], 4, v[5:6]
	s_waitcnt lgkmcnt(0)
	v_add_co_u32 v5, vcc_lo, s0, v5
	s_delay_alu instid0(VALU_DEP_2)
	v_add_co_ci_u32_e32 v6, vcc_lo, s1, v6, vcc_lo
	global_store_b128 v[5:6], v[1:4], off
	s_nop 0
	s_sendmsg sendmsg(MSG_DEALLOC_VGPRS)
	s_endpgm
	.section	.rodata,"a",@progbits
	.p2align	6, 0x0
	.amdhsa_kernel _Z20warp_exchange_kernelILj256ELj1ELj16EN6common25StripedToBlockedShuffleOpEoEvPT3_j
		.amdhsa_group_segment_fixed_size 0
		.amdhsa_private_segment_fixed_size 0
		.amdhsa_kernarg_size 12
		.amdhsa_user_sgpr_count 15
		.amdhsa_user_sgpr_dispatch_ptr 0
		.amdhsa_user_sgpr_queue_ptr 0
		.amdhsa_user_sgpr_kernarg_segment_ptr 1
		.amdhsa_user_sgpr_dispatch_id 0
		.amdhsa_user_sgpr_private_segment_size 0
		.amdhsa_wavefront_size32 1
		.amdhsa_uses_dynamic_stack 0
		.amdhsa_enable_private_segment 0
		.amdhsa_system_sgpr_workgroup_id_x 1
		.amdhsa_system_sgpr_workgroup_id_y 0
		.amdhsa_system_sgpr_workgroup_id_z 0
		.amdhsa_system_sgpr_workgroup_info 0
		.amdhsa_system_vgpr_workitem_id 0
		.amdhsa_next_free_vgpr 7
		.amdhsa_next_free_sgpr 16
		.amdhsa_reserve_vcc 1
		.amdhsa_float_round_mode_32 0
		.amdhsa_float_round_mode_16_64 0
		.amdhsa_float_denorm_mode_32 3
		.amdhsa_float_denorm_mode_16_64 3
		.amdhsa_dx10_clamp 1
		.amdhsa_ieee_mode 1
		.amdhsa_fp16_overflow 0
		.amdhsa_workgroup_processor_mode 1
		.amdhsa_memory_ordered 1
		.amdhsa_forward_progress 0
		.amdhsa_shared_vgpr_count 0
		.amdhsa_exception_fp_ieee_invalid_op 0
		.amdhsa_exception_fp_denorm_src 0
		.amdhsa_exception_fp_ieee_div_zero 0
		.amdhsa_exception_fp_ieee_overflow 0
		.amdhsa_exception_fp_ieee_underflow 0
		.amdhsa_exception_fp_ieee_inexact 0
		.amdhsa_exception_int_div_zero 0
	.end_amdhsa_kernel
	.section	.text._Z20warp_exchange_kernelILj256ELj1ELj16EN6common25StripedToBlockedShuffleOpEoEvPT3_j,"axG",@progbits,_Z20warp_exchange_kernelILj256ELj1ELj16EN6common25StripedToBlockedShuffleOpEoEvPT3_j,comdat
.Lfunc_end82:
	.size	_Z20warp_exchange_kernelILj256ELj1ELj16EN6common25StripedToBlockedShuffleOpEoEvPT3_j, .Lfunc_end82-_Z20warp_exchange_kernelILj256ELj1ELj16EN6common25StripedToBlockedShuffleOpEoEvPT3_j
                                        ; -- End function
	.section	.AMDGPU.csdata,"",@progbits
; Kernel info:
; codeLenInByte = 208
; NumSgprs: 18
; NumVgprs: 7
; ScratchSize: 0
; MemoryBound: 0
; FloatMode: 240
; IeeeMode: 1
; LDSByteSize: 0 bytes/workgroup (compile time only)
; SGPRBlocks: 2
; VGPRBlocks: 0
; NumSGPRsForWavesPerEU: 18
; NumVGPRsForWavesPerEU: 7
; Occupancy: 16
; WaveLimiterHint : 0
; COMPUTE_PGM_RSRC2:SCRATCH_EN: 0
; COMPUTE_PGM_RSRC2:USER_SGPR: 15
; COMPUTE_PGM_RSRC2:TRAP_HANDLER: 0
; COMPUTE_PGM_RSRC2:TGID_X_EN: 1
; COMPUTE_PGM_RSRC2:TGID_Y_EN: 0
; COMPUTE_PGM_RSRC2:TGID_Z_EN: 0
; COMPUTE_PGM_RSRC2:TIDIG_COMP_CNT: 0
	.section	.text._Z20warp_exchange_kernelILj256ELj1ELj32EN6common25StripedToBlockedShuffleOpEoEvPT3_j,"axG",@progbits,_Z20warp_exchange_kernelILj256ELj1ELj32EN6common25StripedToBlockedShuffleOpEoEvPT3_j,comdat
	.protected	_Z20warp_exchange_kernelILj256ELj1ELj32EN6common25StripedToBlockedShuffleOpEoEvPT3_j ; -- Begin function _Z20warp_exchange_kernelILj256ELj1ELj32EN6common25StripedToBlockedShuffleOpEoEvPT3_j
	.globl	_Z20warp_exchange_kernelILj256ELj1ELj32EN6common25StripedToBlockedShuffleOpEoEvPT3_j
	.p2align	8
	.type	_Z20warp_exchange_kernelILj256ELj1ELj32EN6common25StripedToBlockedShuffleOpEoEvPT3_j,@function
_Z20warp_exchange_kernelILj256ELj1ELj32EN6common25StripedToBlockedShuffleOpEoEvPT3_j: ; @_Z20warp_exchange_kernelILj256ELj1ELj32EN6common25StripedToBlockedShuffleOpEoEvPT3_j
; %bb.0:
	s_load_b32 s2, s[0:1], 0x8
	s_waitcnt lgkmcnt(0)
	s_cmp_eq_u32 s2, 0
	s_cbranch_scc1 .LBB83_3
; %bb.1:
	v_mbcnt_lo_u32_b32 v3, -1, 0
	v_dual_mov_b32 v4, 0 :: v_dual_mov_b32 v1, v0
	s_delay_alu instid0(VALU_DEP_2)
	v_dual_mov_b32 v2, 0 :: v_dual_lshlrev_b32 v5, 2, v3
	v_mov_b32_e32 v3, 0
.LBB83_2:                               ; =>This Inner Loop Header: Depth=1
	s_waitcnt lgkmcnt(3)
	ds_bpermute_b32 v1, v5, v1
	s_waitcnt lgkmcnt(3)
	ds_bpermute_b32 v2, v5, v2
	s_waitcnt lgkmcnt(3)
	ds_bpermute_b32 v3, v5, v3
	s_waitcnt lgkmcnt(3)
	ds_bpermute_b32 v4, v5, v4
	s_add_i32 s2, s2, -1
	s_delay_alu instid0(SALU_CYCLE_1)
	s_cmp_lg_u32 s2, 0
	; wave barrier
	s_cbranch_scc1 .LBB83_2
	s_branch .LBB83_4
.LBB83_3:
	v_dual_mov_b32 v4, 0 :: v_dual_mov_b32 v1, v0
	v_dual_mov_b32 v2, 0 :: v_dual_mov_b32 v3, 0
.LBB83_4:
	s_load_b64 s[0:1], s[0:1], 0x0
	v_lshl_or_b32 v5, s15, 8, v0
	v_mov_b32_e32 v6, 0
	s_delay_alu instid0(VALU_DEP_1) | instskip(SKIP_1) | instid1(VALU_DEP_1)
	v_lshlrev_b64 v[5:6], 4, v[5:6]
	s_waitcnt lgkmcnt(0)
	v_add_co_u32 v5, vcc_lo, s0, v5
	s_delay_alu instid0(VALU_DEP_2)
	v_add_co_ci_u32_e32 v6, vcc_lo, s1, v6, vcc_lo
	global_store_b128 v[5:6], v[1:4], off
	s_nop 0
	s_sendmsg sendmsg(MSG_DEALLOC_VGPRS)
	s_endpgm
	.section	.rodata,"a",@progbits
	.p2align	6, 0x0
	.amdhsa_kernel _Z20warp_exchange_kernelILj256ELj1ELj32EN6common25StripedToBlockedShuffleOpEoEvPT3_j
		.amdhsa_group_segment_fixed_size 0
		.amdhsa_private_segment_fixed_size 0
		.amdhsa_kernarg_size 12
		.amdhsa_user_sgpr_count 15
		.amdhsa_user_sgpr_dispatch_ptr 0
		.amdhsa_user_sgpr_queue_ptr 0
		.amdhsa_user_sgpr_kernarg_segment_ptr 1
		.amdhsa_user_sgpr_dispatch_id 0
		.amdhsa_user_sgpr_private_segment_size 0
		.amdhsa_wavefront_size32 1
		.amdhsa_uses_dynamic_stack 0
		.amdhsa_enable_private_segment 0
		.amdhsa_system_sgpr_workgroup_id_x 1
		.amdhsa_system_sgpr_workgroup_id_y 0
		.amdhsa_system_sgpr_workgroup_id_z 0
		.amdhsa_system_sgpr_workgroup_info 0
		.amdhsa_system_vgpr_workitem_id 0
		.amdhsa_next_free_vgpr 7
		.amdhsa_next_free_sgpr 16
		.amdhsa_reserve_vcc 1
		.amdhsa_float_round_mode_32 0
		.amdhsa_float_round_mode_16_64 0
		.amdhsa_float_denorm_mode_32 3
		.amdhsa_float_denorm_mode_16_64 3
		.amdhsa_dx10_clamp 1
		.amdhsa_ieee_mode 1
		.amdhsa_fp16_overflow 0
		.amdhsa_workgroup_processor_mode 1
		.amdhsa_memory_ordered 1
		.amdhsa_forward_progress 0
		.amdhsa_shared_vgpr_count 0
		.amdhsa_exception_fp_ieee_invalid_op 0
		.amdhsa_exception_fp_denorm_src 0
		.amdhsa_exception_fp_ieee_div_zero 0
		.amdhsa_exception_fp_ieee_overflow 0
		.amdhsa_exception_fp_ieee_underflow 0
		.amdhsa_exception_fp_ieee_inexact 0
		.amdhsa_exception_int_div_zero 0
	.end_amdhsa_kernel
	.section	.text._Z20warp_exchange_kernelILj256ELj1ELj32EN6common25StripedToBlockedShuffleOpEoEvPT3_j,"axG",@progbits,_Z20warp_exchange_kernelILj256ELj1ELj32EN6common25StripedToBlockedShuffleOpEoEvPT3_j,comdat
.Lfunc_end83:
	.size	_Z20warp_exchange_kernelILj256ELj1ELj32EN6common25StripedToBlockedShuffleOpEoEvPT3_j, .Lfunc_end83-_Z20warp_exchange_kernelILj256ELj1ELj32EN6common25StripedToBlockedShuffleOpEoEvPT3_j
                                        ; -- End function
	.section	.AMDGPU.csdata,"",@progbits
; Kernel info:
; codeLenInByte = 208
; NumSgprs: 18
; NumVgprs: 7
; ScratchSize: 0
; MemoryBound: 0
; FloatMode: 240
; IeeeMode: 1
; LDSByteSize: 0 bytes/workgroup (compile time only)
; SGPRBlocks: 2
; VGPRBlocks: 0
; NumSGPRsForWavesPerEU: 18
; NumVGPRsForWavesPerEU: 7
; Occupancy: 16
; WaveLimiterHint : 0
; COMPUTE_PGM_RSRC2:SCRATCH_EN: 0
; COMPUTE_PGM_RSRC2:USER_SGPR: 15
; COMPUTE_PGM_RSRC2:TRAP_HANDLER: 0
; COMPUTE_PGM_RSRC2:TGID_X_EN: 1
; COMPUTE_PGM_RSRC2:TGID_Y_EN: 0
; COMPUTE_PGM_RSRC2:TGID_Z_EN: 0
; COMPUTE_PGM_RSRC2:TIDIG_COMP_CNT: 0
	.section	.text._Z20warp_exchange_kernelILj256ELj4ELj16EN6common25StripedToBlockedShuffleOpEoEvPT3_j,"axG",@progbits,_Z20warp_exchange_kernelILj256ELj4ELj16EN6common25StripedToBlockedShuffleOpEoEvPT3_j,comdat
	.protected	_Z20warp_exchange_kernelILj256ELj4ELj16EN6common25StripedToBlockedShuffleOpEoEvPT3_j ; -- Begin function _Z20warp_exchange_kernelILj256ELj4ELj16EN6common25StripedToBlockedShuffleOpEoEvPT3_j
	.globl	_Z20warp_exchange_kernelILj256ELj4ELj16EN6common25StripedToBlockedShuffleOpEoEvPT3_j
	.p2align	8
	.type	_Z20warp_exchange_kernelILj256ELj4ELj16EN6common25StripedToBlockedShuffleOpEoEvPT3_j,@function
_Z20warp_exchange_kernelILj256ELj4ELj16EN6common25StripedToBlockedShuffleOpEoEvPT3_j: ; @_Z20warp_exchange_kernelILj256ELj4ELj16EN6common25StripedToBlockedShuffleOpEoEvPT3_j
; %bb.0:
	s_load_b32 s4, s[2:3], 0x8
	v_and_b32_e32 v7, 0x3ff, v0
	s_delay_alu instid0(VALU_DEP_1) | instskip(NEXT) | instid1(VALU_DEP_1)
	v_lshlrev_b32_e32 v17, 2, v7
	v_or_b32_e32 v9, 1, v17
	v_or_b32_e32 v5, 2, v17
	;; [unrolled: 1-line block ×3, first 2 shown]
	s_waitcnt lgkmcnt(0)
	s_cmp_eq_u32 s4, 0
	s_cbranch_scc1 .LBB84_3
; %bb.1:
	s_load_b64 s[0:1], s[0:1], 0x4
	v_bfe_u32 v8, v0, 10, 10
	v_bfe_u32 v11, v0, 20, 10
	v_mbcnt_lo_u32_b32 v0, -1, 0
	v_dual_mov_b32 v2, 0 :: v_dual_mov_b32 v15, 0
	v_dual_mov_b32 v16, 0 :: v_dual_mov_b32 v3, 0
	s_delay_alu instid0(VALU_DEP_3) | instskip(SKIP_3) | instid1(VALU_DEP_4)
	v_bfe_u32 v24, v0, 2, 2
	v_dual_mov_b32 v4, 0 :: v_dual_add_nc_u32 v13, 12, v0
	v_lshlrev_b32_e32 v14, 2, v0
	v_lshrrev_b32_e32 v20, 2, v0
	v_xor_b32_e32 v26, 2, v24
	v_dual_mov_b32 v6, v2 :: v_dual_add_nc_u32 v19, 4, v0
	v_dual_mov_b32 v10, v2 :: v_dual_and_b32 v21, 3, v0
	v_and_b32_e32 v12, 16, v0
	v_add_nc_u32_e32 v22, -1, v0
	s_waitcnt lgkmcnt(0)
	s_lshr_b32 s0, s0, 16
	v_xor_b32_e32 v0, 32, v14
	s_mul_i32 s0, s0, s1
	v_add_nc_u32_e32 v14, -1, v20
	v_mul_lo_u32 v7, s0, v7
	v_dual_mov_b32 v18, v2 :: v_dual_and_b32 v23, 3, v22
	v_xor_b32_e32 v28, 2, v21
	s_delay_alu instid0(VALU_DEP_2) | instskip(NEXT) | instid1(VALU_DEP_4)
	v_lshl_add_u32 v23, v23, 4, 0
	v_mad_u32_u24 v7, v8, s1, v7
	v_add_nc_u32_e32 v8, -1, v26
	s_delay_alu instid0(VALU_DEP_2) | instskip(SKIP_1) | instid1(VALU_DEP_3)
	v_add_lshl_u32 v22, v7, v11, 6
	v_and_b32_e32 v7, 3, v14
	v_and_b32_e32 v8, 3, v8
	s_delay_alu instid0(VALU_DEP_3) | instskip(NEXT) | instid1(VALU_DEP_3)
	v_lshl_or_b32 v24, v24, 4, v22
	v_lshl_or_b32 v25, v7, 4, v22
	s_delay_alu instid0(VALU_DEP_3)
	v_lshl_or_b32 v27, v8, 4, v22
	v_dual_mov_b32 v8, v4 :: v_dual_mov_b32 v7, v3
	v_and_or_b32 v13, v13, 15, v12
	v_and_or_b32 v12, v19, 15, v12
	v_lshl_add_u32 v19, v21, 4, 0
	v_lshl_or_b32 v26, v26, 4, v22
	s_delay_alu instid0(VALU_DEP_4) | instskip(NEXT) | instid1(VALU_DEP_4)
	v_lshlrev_b32_e32 v20, 2, v13
	v_lshlrev_b32_e32 v21, 2, v12
	v_dual_mov_b32 v13, v17 :: v_dual_add_nc_u32 v12, -1, v28
	v_lshl_add_u32 v28, v28, 4, 0
	s_delay_alu instid0(VALU_DEP_2) | instskip(NEXT) | instid1(VALU_DEP_1)
	v_dual_mov_b32 v14, v18 :: v_dual_and_b32 v11, 3, v12
	v_lshl_add_u32 v29, v11, 4, 0
	v_dual_mov_b32 v12, v4 :: v_dual_mov_b32 v11, v3
.LBB84_2:                               ; =>This Inner Loop Header: Depth=1
	ds_bpermute_b32 v30, v20, v9
	ds_bpermute_b32 v31, v20, v10
	;; [unrolled: 1-line block ×12, first 2 shown]
	s_add_i32 s4, s4, -1
	s_waitcnt vmcnt(0)
	ds_store_b128 v22, v[13:16]
	ds_store_b128 v22, v[9:12] offset:16
	ds_store_b128 v22, v[5:8] offset:32
	;; [unrolled: 1-line block ×3, first 2 shown]
	ds_store_b128 v24, v[13:16]
	s_waitcnt lgkmcnt(13)
	ds_store_b128 v25, v[30:33]
	s_waitcnt lgkmcnt(10)
	;; [unrolled: 2-line block ×3, first 2 shown]
	ds_store_b128 v27, v[38:41]
	ds_load_b128 v[1:4], v22 offset:16
	ds_load_b128 v[5:8], v22 offset:32
	;; [unrolled: 1-line block ×3, first 2 shown]
	s_cmp_lg_u32 s4, 0
	s_waitcnt lgkmcnt(2)
	ds_bpermute_b32 v13, v21, v1
	ds_bpermute_b32 v14, v21, v2
	ds_bpermute_b32 v15, v21, v3
	ds_bpermute_b32 v16, v21, v4
	s_waitcnt lgkmcnt(5)
	ds_bpermute_b32 v18, v0, v5
	ds_bpermute_b32 v30, v0, v6
	ds_bpermute_b32 v31, v0, v7
	ds_bpermute_b32 v32, v0, v8
	;; [unrolled: 5-line block ×3, first 2 shown]
	ds_load_b128 v[1:4], v22
	s_waitcnt lgkmcnt(12)
	v_mov_b32_dpp v5, v13 quad_perm:[3,0,1,2] row_mask:0xf bank_mask:0xf
	s_waitcnt lgkmcnt(11)
	v_mov_b32_dpp v6, v14 quad_perm:[3,0,1,2] row_mask:0xf bank_mask:0xf
	;; [unrolled: 2-line block ×12, first 2 shown]
	s_waitcnt lgkmcnt(0)
	s_clause 0x3
	scratch_store_b128 v19, v[1:4], off
	scratch_store_b128 v23, v[5:8], off
	;; [unrolled: 1-line block ×4, first 2 shown]
	s_clause 0x3
	scratch_load_b128 v[1:4], off, off offset:16
	scratch_load_b128 v[5:8], off, off offset:32
	;; [unrolled: 1-line block ×3, first 2 shown]
	scratch_load_b128 v[13:16], off, off
	; wave barrier
	s_waitcnt vmcnt(3)
	v_mov_b32_dpp v9, v1 quad_perm:[1,2,3,0] row_mask:0xf bank_mask:0xf
	v_mov_b32_dpp v10, v2 quad_perm:[1,2,3,0] row_mask:0xf bank_mask:0xf
	v_mov_b32_dpp v11, v3 quad_perm:[1,2,3,0] row_mask:0xf bank_mask:0xf
	v_mov_b32_dpp v12, v4 quad_perm:[1,2,3,0] row_mask:0xf bank_mask:0xf
	s_waitcnt vmcnt(2)
	v_mov_b32_dpp v5, v5 quad_perm:[2,3,0,1] row_mask:0xf bank_mask:0xf
	v_mov_b32_dpp v6, v6 quad_perm:[2,3,0,1] row_mask:0xf bank_mask:0xf
	v_mov_b32_dpp v7, v7 quad_perm:[2,3,0,1] row_mask:0xf bank_mask:0xf
	v_mov_b32_dpp v8, v8 quad_perm:[2,3,0,1] row_mask:0xf bank_mask:0xf
	;; [unrolled: 5-line block ×3, first 2 shown]
	s_cbranch_scc1 .LBB84_2
	s_branch .LBB84_4
.LBB84_3:
	v_dual_mov_b32 v18, 0 :: v_dual_mov_b32 v15, 0
	v_dual_mov_b32 v16, 0 :: v_dual_mov_b32 v3, 0
	;; [unrolled: 1-line block ×3, first 2 shown]
	s_delay_alu instid0(VALU_DEP_3)
	v_dual_mov_b32 v10, v18 :: v_dual_mov_b32 v11, v15
	v_dual_mov_b32 v6, v18 :: v_dual_mov_b32 v7, v15
	v_mov_b32_e32 v2, v18
	v_mov_b32_e32 v14, v18
	;; [unrolled: 1-line block ×4, first 2 shown]
.LBB84_4:
	s_load_b64 s[0:1], s[2:3], 0x0
	v_lshl_or_b32 v17, s15, 10, v17
	v_mov_b32_e32 v18, 0
	s_delay_alu instid0(VALU_DEP_1) | instskip(SKIP_1) | instid1(VALU_DEP_1)
	v_lshlrev_b64 v[17:18], 4, v[17:18]
	s_waitcnt lgkmcnt(0)
	v_add_co_u32 v17, vcc_lo, s0, v17
	s_delay_alu instid0(VALU_DEP_2)
	v_add_co_ci_u32_e32 v18, vcc_lo, s1, v18, vcc_lo
	s_waitcnt vmcnt(0)
	s_clause 0x3
	global_store_b128 v[17:18], v[13:16], off
	global_store_b128 v[17:18], v[9:12], off offset:16
	global_store_b128 v[17:18], v[5:8], off offset:32
	;; [unrolled: 1-line block ×3, first 2 shown]
	s_endpgm
	.section	.rodata,"a",@progbits
	.p2align	6, 0x0
	.amdhsa_kernel _Z20warp_exchange_kernelILj256ELj4ELj16EN6common25StripedToBlockedShuffleOpEoEvPT3_j
		.amdhsa_group_segment_fixed_size 16384
		.amdhsa_private_segment_fixed_size 80
		.amdhsa_kernarg_size 12
		.amdhsa_user_sgpr_count 15
		.amdhsa_user_sgpr_dispatch_ptr 1
		.amdhsa_user_sgpr_queue_ptr 0
		.amdhsa_user_sgpr_kernarg_segment_ptr 1
		.amdhsa_user_sgpr_dispatch_id 0
		.amdhsa_user_sgpr_private_segment_size 0
		.amdhsa_wavefront_size32 1
		.amdhsa_uses_dynamic_stack 0
		.amdhsa_enable_private_segment 1
		.amdhsa_system_sgpr_workgroup_id_x 1
		.amdhsa_system_sgpr_workgroup_id_y 0
		.amdhsa_system_sgpr_workgroup_id_z 0
		.amdhsa_system_sgpr_workgroup_info 0
		.amdhsa_system_vgpr_workitem_id 2
		.amdhsa_next_free_vgpr 42
		.amdhsa_next_free_sgpr 16
		.amdhsa_reserve_vcc 1
		.amdhsa_float_round_mode_32 0
		.amdhsa_float_round_mode_16_64 0
		.amdhsa_float_denorm_mode_32 3
		.amdhsa_float_denorm_mode_16_64 3
		.amdhsa_dx10_clamp 1
		.amdhsa_ieee_mode 1
		.amdhsa_fp16_overflow 0
		.amdhsa_workgroup_processor_mode 1
		.amdhsa_memory_ordered 1
		.amdhsa_forward_progress 0
		.amdhsa_shared_vgpr_count 0
		.amdhsa_exception_fp_ieee_invalid_op 0
		.amdhsa_exception_fp_denorm_src 0
		.amdhsa_exception_fp_ieee_div_zero 0
		.amdhsa_exception_fp_ieee_overflow 0
		.amdhsa_exception_fp_ieee_underflow 0
		.amdhsa_exception_fp_ieee_inexact 0
		.amdhsa_exception_int_div_zero 0
	.end_amdhsa_kernel
	.section	.text._Z20warp_exchange_kernelILj256ELj4ELj16EN6common25StripedToBlockedShuffleOpEoEvPT3_j,"axG",@progbits,_Z20warp_exchange_kernelILj256ELj4ELj16EN6common25StripedToBlockedShuffleOpEoEvPT3_j,comdat
.Lfunc_end84:
	.size	_Z20warp_exchange_kernelILj256ELj4ELj16EN6common25StripedToBlockedShuffleOpEoEvPT3_j, .Lfunc_end84-_Z20warp_exchange_kernelILj256ELj4ELj16EN6common25StripedToBlockedShuffleOpEoEvPT3_j
                                        ; -- End function
	.section	.AMDGPU.csdata,"",@progbits
; Kernel info:
; codeLenInByte = 1180
; NumSgprs: 18
; NumVgprs: 42
; ScratchSize: 80
; MemoryBound: 0
; FloatMode: 240
; IeeeMode: 1
; LDSByteSize: 16384 bytes/workgroup (compile time only)
; SGPRBlocks: 2
; VGPRBlocks: 5
; NumSGPRsForWavesPerEU: 18
; NumVGPRsForWavesPerEU: 42
; Occupancy: 16
; WaveLimiterHint : 0
; COMPUTE_PGM_RSRC2:SCRATCH_EN: 1
; COMPUTE_PGM_RSRC2:USER_SGPR: 15
; COMPUTE_PGM_RSRC2:TRAP_HANDLER: 0
; COMPUTE_PGM_RSRC2:TGID_X_EN: 1
; COMPUTE_PGM_RSRC2:TGID_Y_EN: 0
; COMPUTE_PGM_RSRC2:TGID_Z_EN: 0
; COMPUTE_PGM_RSRC2:TIDIG_COMP_CNT: 2
	.section	.text._Z20warp_exchange_kernelILj256ELj4ELj32EN6common25StripedToBlockedShuffleOpEoEvPT3_j,"axG",@progbits,_Z20warp_exchange_kernelILj256ELj4ELj32EN6common25StripedToBlockedShuffleOpEoEvPT3_j,comdat
	.protected	_Z20warp_exchange_kernelILj256ELj4ELj32EN6common25StripedToBlockedShuffleOpEoEvPT3_j ; -- Begin function _Z20warp_exchange_kernelILj256ELj4ELj32EN6common25StripedToBlockedShuffleOpEoEvPT3_j
	.globl	_Z20warp_exchange_kernelILj256ELj4ELj32EN6common25StripedToBlockedShuffleOpEoEvPT3_j
	.p2align	8
	.type	_Z20warp_exchange_kernelILj256ELj4ELj32EN6common25StripedToBlockedShuffleOpEoEvPT3_j,@function
_Z20warp_exchange_kernelILj256ELj4ELj32EN6common25StripedToBlockedShuffleOpEoEvPT3_j: ; @_Z20warp_exchange_kernelILj256ELj4ELj32EN6common25StripedToBlockedShuffleOpEoEvPT3_j
; %bb.0:
	s_load_b32 s5, s[0:1], 0x8
	v_dual_mov_b32 v17, 0 :: v_dual_lshlrev_b32 v16, 2, v0
	s_delay_alu instid0(VALU_DEP_1)
	v_or_b32_e32 v22, 1, v16
	v_or_b32_e32 v20, 2, v16
	;; [unrolled: 1-line block ×3, first 2 shown]
	s_waitcnt lgkmcnt(0)
	s_cmp_eq_u32 s5, 0
	s_cbranch_scc1 .LBB85_27
; %bb.1:
	v_mbcnt_lo_u32_b32 v0, -1, 0
	v_dual_mov_b32 v29, 0 :: v_dual_mov_b32 v30, 0
	v_dual_mov_b32 v31, 0 :: v_dual_mov_b32 v24, 0
	s_delay_alu instid0(VALU_DEP_3) | instskip(SKIP_2) | instid1(VALU_DEP_3)
	v_dual_mov_b32 v32, 0 :: v_dual_lshlrev_b32 v1, 4, v0
	v_lshrrev_b32_e32 v2, 3, v0
	v_dual_mov_b32 v33, 0 :: v_dual_mov_b32 v34, 0
	v_dual_mov_b32 v36, 0 :: v_dual_and_b32 v25, 0x70, v1
	v_cmp_gt_u32_e32 vcc_lo, 8, v0
	s_delay_alu instid0(VALU_DEP_4)
	v_cmp_eq_u32_e64 s2, 1, v2
	v_cmp_eq_u32_e64 s3, 2, v2
	v_cmp_eq_u32_e64 s4, 3, v2
	v_or_b32_e32 v26, 4, v25
	v_or_b32_e32 v27, 8, v25
	;; [unrolled: 1-line block ×3, first 2 shown]
	v_mov_b32_e32 v19, 0
	v_mov_b32_e32 v23, 0
	;; [unrolled: 1-line block ×4, first 2 shown]
	s_branch .LBB85_3
.LBB85_2:                               ;   in Loop: Header=BB85_3 Depth=1
	s_or_b32 exec_lo, exec_lo, s6
	s_waitcnt lgkmcnt(3)
	v_dual_mov_b32 v18, v12 :: v_dual_mov_b32 v17, v13
	v_dual_mov_b32 v29, v14 :: v_dual_mov_b32 v30, v15
	s_waitcnt lgkmcnt(1)
	v_dual_mov_b32 v20, v8 :: v_dual_mov_b32 v31, v9
	v_dual_mov_b32 v32, v10 :: v_dual_mov_b32 v33, v11
	;; [unrolled: 1-line block ×4, first 2 shown]
	s_waitcnt lgkmcnt(0)
	v_dual_mov_b32 v21, v0 :: v_dual_mov_b32 v34, v1
	v_dual_mov_b32 v35, v2 :: v_dual_mov_b32 v36, v3
	s_add_i32 s5, s5, -1
	s_delay_alu instid0(SALU_CYCLE_1)
	s_cmp_lg_u32 s5, 0
	; wave barrier
	s_cbranch_scc0 .LBB85_28
.LBB85_3:                               ; =>This Inner Loop Header: Depth=1
	ds_bpermute_b32 v0, v25, v21
	ds_bpermute_b32 v1, v25, v34
	;; [unrolled: 1-line block ×4, first 2 shown]
	s_and_saveexec_b32 s6, vcc_lo
	s_delay_alu instid0(SALU_CYCLE_1)
	s_or_b32 exec_lo, exec_lo, s6
	ds_bpermute_b32 v4, v25, v22
	ds_bpermute_b32 v5, v25, v19
	ds_bpermute_b32 v6, v25, v23
	ds_bpermute_b32 v7, v25, v24
	s_and_saveexec_b32 s6, s2
	s_cbranch_execz .LBB85_5
; %bb.4:                                ;   in Loop: Header=BB85_3 Depth=1
	s_waitcnt lgkmcnt(2)
	v_dual_mov_b32 v0, v4 :: v_dual_mov_b32 v1, v5
	s_waitcnt lgkmcnt(0)
	v_dual_mov_b32 v2, v6 :: v_dual_mov_b32 v3, v7
.LBB85_5:                               ;   in Loop: Header=BB85_3 Depth=1
	s_or_b32 exec_lo, exec_lo, s6
	s_waitcnt lgkmcnt(3)
	ds_bpermute_b32 v4, v25, v20
	s_waitcnt lgkmcnt(3)
	ds_bpermute_b32 v5, v25, v31
	s_waitcnt lgkmcnt(3)
	ds_bpermute_b32 v6, v25, v32
	s_waitcnt lgkmcnt(3)
	ds_bpermute_b32 v7, v25, v33
	s_and_saveexec_b32 s6, s3
	s_cbranch_execz .LBB85_7
; %bb.6:                                ;   in Loop: Header=BB85_3 Depth=1
	s_waitcnt lgkmcnt(2)
	v_dual_mov_b32 v0, v4 :: v_dual_mov_b32 v1, v5
	s_waitcnt lgkmcnt(0)
	v_dual_mov_b32 v2, v6 :: v_dual_mov_b32 v3, v7
.LBB85_7:                               ;   in Loop: Header=BB85_3 Depth=1
	s_or_b32 exec_lo, exec_lo, s6
	s_waitcnt lgkmcnt(3)
	ds_bpermute_b32 v4, v25, v18
	s_waitcnt lgkmcnt(3)
	ds_bpermute_b32 v5, v25, v17
	s_waitcnt lgkmcnt(3)
	ds_bpermute_b32 v6, v25, v29
	s_waitcnt lgkmcnt(3)
	ds_bpermute_b32 v7, v25, v30
	;; [unrolled: 17-line block ×3, first 2 shown]
	s_and_saveexec_b32 s6, vcc_lo
	s_delay_alu instid0(SALU_CYCLE_1)
	s_or_b32 exec_lo, exec_lo, s6
	ds_bpermute_b32 v8, v26, v22
	ds_bpermute_b32 v9, v26, v19
	;; [unrolled: 1-line block ×4, first 2 shown]
	s_and_saveexec_b32 s6, s2
	s_cbranch_execz .LBB85_11
; %bb.10:                               ;   in Loop: Header=BB85_3 Depth=1
	s_waitcnt lgkmcnt(2)
	v_dual_mov_b32 v4, v8 :: v_dual_mov_b32 v5, v9
	s_waitcnt lgkmcnt(0)
	v_dual_mov_b32 v6, v10 :: v_dual_mov_b32 v7, v11
.LBB85_11:                              ;   in Loop: Header=BB85_3 Depth=1
	s_or_b32 exec_lo, exec_lo, s6
	s_waitcnt lgkmcnt(3)
	ds_bpermute_b32 v8, v26, v20
	s_waitcnt lgkmcnt(3)
	ds_bpermute_b32 v9, v26, v31
	s_waitcnt lgkmcnt(3)
	ds_bpermute_b32 v10, v26, v32
	s_waitcnt lgkmcnt(3)
	ds_bpermute_b32 v11, v26, v33
	s_and_saveexec_b32 s6, s3
	s_cbranch_execz .LBB85_13
; %bb.12:                               ;   in Loop: Header=BB85_3 Depth=1
	s_waitcnt lgkmcnt(2)
	v_dual_mov_b32 v4, v8 :: v_dual_mov_b32 v5, v9
	s_waitcnt lgkmcnt(0)
	v_dual_mov_b32 v6, v10 :: v_dual_mov_b32 v7, v11
.LBB85_13:                              ;   in Loop: Header=BB85_3 Depth=1
	s_or_b32 exec_lo, exec_lo, s6
	s_waitcnt lgkmcnt(3)
	ds_bpermute_b32 v8, v26, v18
	s_waitcnt lgkmcnt(3)
	ds_bpermute_b32 v9, v26, v17
	s_waitcnt lgkmcnt(3)
	ds_bpermute_b32 v10, v26, v29
	s_waitcnt lgkmcnt(3)
	ds_bpermute_b32 v11, v26, v30
	;; [unrolled: 17-line block ×3, first 2 shown]
	s_and_saveexec_b32 s6, vcc_lo
	s_delay_alu instid0(SALU_CYCLE_1)
	s_or_b32 exec_lo, exec_lo, s6
	ds_bpermute_b32 v12, v27, v22
	ds_bpermute_b32 v13, v27, v19
	;; [unrolled: 1-line block ×4, first 2 shown]
	s_and_saveexec_b32 s6, s2
	s_cbranch_execz .LBB85_17
; %bb.16:                               ;   in Loop: Header=BB85_3 Depth=1
	s_waitcnt lgkmcnt(2)
	v_dual_mov_b32 v8, v12 :: v_dual_mov_b32 v9, v13
	s_waitcnt lgkmcnt(0)
	v_dual_mov_b32 v10, v14 :: v_dual_mov_b32 v11, v15
.LBB85_17:                              ;   in Loop: Header=BB85_3 Depth=1
	s_or_b32 exec_lo, exec_lo, s6
	s_waitcnt lgkmcnt(3)
	ds_bpermute_b32 v12, v27, v20
	s_waitcnt lgkmcnt(3)
	ds_bpermute_b32 v13, v27, v31
	s_waitcnt lgkmcnt(3)
	ds_bpermute_b32 v14, v27, v32
	s_waitcnt lgkmcnt(3)
	ds_bpermute_b32 v15, v27, v33
	s_and_saveexec_b32 s6, s3
	s_cbranch_execz .LBB85_19
; %bb.18:                               ;   in Loop: Header=BB85_3 Depth=1
	s_waitcnt lgkmcnt(2)
	v_dual_mov_b32 v8, v12 :: v_dual_mov_b32 v9, v13
	s_waitcnt lgkmcnt(0)
	v_dual_mov_b32 v10, v14 :: v_dual_mov_b32 v11, v15
.LBB85_19:                              ;   in Loop: Header=BB85_3 Depth=1
	s_or_b32 exec_lo, exec_lo, s6
	s_waitcnt lgkmcnt(3)
	ds_bpermute_b32 v12, v27, v18
	s_waitcnt lgkmcnt(3)
	ds_bpermute_b32 v13, v27, v17
	s_waitcnt lgkmcnt(3)
	ds_bpermute_b32 v14, v27, v29
	s_waitcnt lgkmcnt(3)
	ds_bpermute_b32 v15, v27, v30
	;; [unrolled: 17-line block ×3, first 2 shown]
	s_and_saveexec_b32 s6, vcc_lo
	s_delay_alu instid0(SALU_CYCLE_1)
	s_or_b32 exec_lo, exec_lo, s6
	ds_bpermute_b32 v21, v28, v22
	ds_bpermute_b32 v22, v28, v19
	;; [unrolled: 1-line block ×4, first 2 shown]
	s_and_saveexec_b32 s6, s2
	s_cbranch_execz .LBB85_23
; %bb.22:                               ;   in Loop: Header=BB85_3 Depth=1
	s_waitcnt lgkmcnt(2)
	v_dual_mov_b32 v12, v21 :: v_dual_mov_b32 v13, v22
	s_waitcnt lgkmcnt(0)
	v_dual_mov_b32 v14, v23 :: v_dual_mov_b32 v15, v24
.LBB85_23:                              ;   in Loop: Header=BB85_3 Depth=1
	s_or_b32 exec_lo, exec_lo, s6
	ds_bpermute_b32 v19, v28, v20
	ds_bpermute_b32 v20, v28, v31
	s_waitcnt lgkmcnt(5)
	ds_bpermute_b32 v21, v28, v32
	s_waitcnt lgkmcnt(5)
	ds_bpermute_b32 v22, v28, v33
	s_and_saveexec_b32 s6, s3
	s_cbranch_execz .LBB85_25
; %bb.24:                               ;   in Loop: Header=BB85_3 Depth=1
	s_waitcnt lgkmcnt(2)
	v_dual_mov_b32 v12, v19 :: v_dual_mov_b32 v13, v20
	s_waitcnt lgkmcnt(0)
	v_dual_mov_b32 v14, v21 :: v_dual_mov_b32 v15, v22
.LBB85_25:                              ;   in Loop: Header=BB85_3 Depth=1
	s_or_b32 exec_lo, exec_lo, s6
	ds_bpermute_b32 v18, v28, v18
	s_waitcnt lgkmcnt(4)
	ds_bpermute_b32 v19, v28, v17
	s_waitcnt lgkmcnt(4)
	;; [unrolled: 2-line block ×3, first 2 shown]
	ds_bpermute_b32 v21, v28, v30
	s_and_saveexec_b32 s6, s4
	s_cbranch_execz .LBB85_2
; %bb.26:                               ;   in Loop: Header=BB85_3 Depth=1
	s_waitcnt lgkmcnt(2)
	v_dual_mov_b32 v12, v18 :: v_dual_mov_b32 v13, v19
	s_waitcnt lgkmcnt(0)
	v_dual_mov_b32 v14, v20 :: v_dual_mov_b32 v15, v21
	s_branch .LBB85_2
.LBB85_27:
	v_dual_mov_b32 v2, 0 :: v_dual_mov_b32 v23, v17
	v_dual_mov_b32 v3, 0 :: v_dual_mov_b32 v14, 0
	;; [unrolled: 1-line block ×3, first 2 shown]
	v_mov_b32_e32 v19, v17
	v_dual_mov_b32 v15, 0 :: v_dual_mov_b32 v0, v16
	s_delay_alu instid0(VALU_DEP_4)
	v_mov_b32_e32 v7, v3
	v_dual_mov_b32 v1, v17 :: v_dual_mov_b32 v8, v20
	v_dual_mov_b32 v6, v2 :: v_dual_mov_b32 v11, v3
	;; [unrolled: 1-line block ×4, first 2 shown]
	v_mov_b32_e32 v13, v19
.LBB85_28:
	s_load_b64 s[0:1], s[0:1], 0x0
	v_lshl_or_b32 v16, s15, 10, v16
	v_mov_b32_e32 v17, 0
	s_delay_alu instid0(VALU_DEP_1) | instskip(SKIP_1) | instid1(VALU_DEP_1)
	v_lshlrev_b64 v[16:17], 4, v[16:17]
	s_waitcnt lgkmcnt(0)
	v_add_co_u32 v16, vcc_lo, s0, v16
	s_delay_alu instid0(VALU_DEP_2)
	v_add_co_ci_u32_e32 v17, vcc_lo, s1, v17, vcc_lo
	s_clause 0x3
	global_store_b128 v[16:17], v[0:3], off
	global_store_b128 v[16:17], v[4:7], off offset:16
	global_store_b128 v[16:17], v[8:11], off offset:32
	;; [unrolled: 1-line block ×3, first 2 shown]
	s_nop 0
	s_sendmsg sendmsg(MSG_DEALLOC_VGPRS)
	s_endpgm
	.section	.rodata,"a",@progbits
	.p2align	6, 0x0
	.amdhsa_kernel _Z20warp_exchange_kernelILj256ELj4ELj32EN6common25StripedToBlockedShuffleOpEoEvPT3_j
		.amdhsa_group_segment_fixed_size 0
		.amdhsa_private_segment_fixed_size 0
		.amdhsa_kernarg_size 12
		.amdhsa_user_sgpr_count 15
		.amdhsa_user_sgpr_dispatch_ptr 0
		.amdhsa_user_sgpr_queue_ptr 0
		.amdhsa_user_sgpr_kernarg_segment_ptr 1
		.amdhsa_user_sgpr_dispatch_id 0
		.amdhsa_user_sgpr_private_segment_size 0
		.amdhsa_wavefront_size32 1
		.amdhsa_uses_dynamic_stack 0
		.amdhsa_enable_private_segment 0
		.amdhsa_system_sgpr_workgroup_id_x 1
		.amdhsa_system_sgpr_workgroup_id_y 0
		.amdhsa_system_sgpr_workgroup_id_z 0
		.amdhsa_system_sgpr_workgroup_info 0
		.amdhsa_system_vgpr_workitem_id 0
		.amdhsa_next_free_vgpr 37
		.amdhsa_next_free_sgpr 16
		.amdhsa_reserve_vcc 1
		.amdhsa_float_round_mode_32 0
		.amdhsa_float_round_mode_16_64 0
		.amdhsa_float_denorm_mode_32 3
		.amdhsa_float_denorm_mode_16_64 3
		.amdhsa_dx10_clamp 1
		.amdhsa_ieee_mode 1
		.amdhsa_fp16_overflow 0
		.amdhsa_workgroup_processor_mode 1
		.amdhsa_memory_ordered 1
		.amdhsa_forward_progress 0
		.amdhsa_shared_vgpr_count 0
		.amdhsa_exception_fp_ieee_invalid_op 0
		.amdhsa_exception_fp_denorm_src 0
		.amdhsa_exception_fp_ieee_div_zero 0
		.amdhsa_exception_fp_ieee_overflow 0
		.amdhsa_exception_fp_ieee_underflow 0
		.amdhsa_exception_fp_ieee_inexact 0
		.amdhsa_exception_int_div_zero 0
	.end_amdhsa_kernel
	.section	.text._Z20warp_exchange_kernelILj256ELj4ELj32EN6common25StripedToBlockedShuffleOpEoEvPT3_j,"axG",@progbits,_Z20warp_exchange_kernelILj256ELj4ELj32EN6common25StripedToBlockedShuffleOpEoEvPT3_j,comdat
.Lfunc_end85:
	.size	_Z20warp_exchange_kernelILj256ELj4ELj32EN6common25StripedToBlockedShuffleOpEoEvPT3_j, .Lfunc_end85-_Z20warp_exchange_kernelILj256ELj4ELj32EN6common25StripedToBlockedShuffleOpEoEvPT3_j
                                        ; -- End function
	.section	.AMDGPU.csdata,"",@progbits
; Kernel info:
; codeLenInByte = 1600
; NumSgprs: 18
; NumVgprs: 37
; ScratchSize: 0
; MemoryBound: 0
; FloatMode: 240
; IeeeMode: 1
; LDSByteSize: 0 bytes/workgroup (compile time only)
; SGPRBlocks: 2
; VGPRBlocks: 4
; NumSGPRsForWavesPerEU: 18
; NumVGPRsForWavesPerEU: 37
; Occupancy: 16
; WaveLimiterHint : 0
; COMPUTE_PGM_RSRC2:SCRATCH_EN: 0
; COMPUTE_PGM_RSRC2:USER_SGPR: 15
; COMPUTE_PGM_RSRC2:TRAP_HANDLER: 0
; COMPUTE_PGM_RSRC2:TGID_X_EN: 1
; COMPUTE_PGM_RSRC2:TGID_Y_EN: 0
; COMPUTE_PGM_RSRC2:TGID_Z_EN: 0
; COMPUTE_PGM_RSRC2:TIDIG_COMP_CNT: 0
	.section	.text._Z20warp_exchange_kernelILj256ELj16ELj16EN6common25StripedToBlockedShuffleOpEoEvPT3_j,"axG",@progbits,_Z20warp_exchange_kernelILj256ELj16ELj16EN6common25StripedToBlockedShuffleOpEoEvPT3_j,comdat
	.protected	_Z20warp_exchange_kernelILj256ELj16ELj16EN6common25StripedToBlockedShuffleOpEoEvPT3_j ; -- Begin function _Z20warp_exchange_kernelILj256ELj16ELj16EN6common25StripedToBlockedShuffleOpEoEvPT3_j
	.globl	_Z20warp_exchange_kernelILj256ELj16ELj16EN6common25StripedToBlockedShuffleOpEoEvPT3_j
	.p2align	8
	.type	_Z20warp_exchange_kernelILj256ELj16ELj16EN6common25StripedToBlockedShuffleOpEoEvPT3_j,@function
_Z20warp_exchange_kernelILj256ELj16ELj16EN6common25StripedToBlockedShuffleOpEoEvPT3_j: ; @_Z20warp_exchange_kernelILj256ELj16ELj16EN6common25StripedToBlockedShuffleOpEoEvPT3_j
; %bb.0:
	s_load_b32 s5, s[0:1], 0x8
	v_lshlrev_b32_e32 v64, 4, v0
	s_delay_alu instid0(VALU_DEP_1)
	v_or_b32_e32 v56, 1, v64
	v_or_b32_e32 v52, 2, v64
	;; [unrolled: 1-line block ×15, first 2 shown]
	s_waitcnt lgkmcnt(0)
	s_cmp_eq_u32 s5, 0
	s_cbranch_scc1 .LBB86_3
; %bb.1:
	v_mbcnt_lo_u32_b32 v6, -1, 0
	v_dual_mov_b32 v1, 0 :: v_dual_mov_b32 v2, 0
	s_movk_i32 s2, 0x80
	s_delay_alu instid0(VALU_DEP_2) | instskip(SKIP_1) | instid1(VALU_DEP_3)
	v_dual_mov_b32 v22, 0xc0 :: v_dual_and_b32 v7, 8, v6
	v_mov_b32_e32 v3, 0
	v_mov_b32_e32 v29, v1
	;; [unrolled: 1-line block ×3, first 2 shown]
	s_delay_alu instid0(VALU_DEP_4) | instskip(SKIP_3) | instid1(VALU_DEP_4)
	v_dual_mov_b32 v17, v1 :: v_dual_lshlrev_b32 v10, 4, v7
	v_and_b32_e32 v15, 4, v6
	v_dual_mov_b32 v47, v3 :: v_dual_mov_b32 v46, v2
	v_mov_b32_e32 v11, 0xa0
	v_xad_u32 v66, v10, s2, 0
	s_delay_alu instid0(VALU_DEP_4)
	v_lshlrev_b32_e32 v23, 4, v15
	v_cmp_eq_u32_e64 s2, 0, v15
	v_and_b32_e32 v15, 2, v6
	v_dual_mov_b32 v43, v3 :: v_dual_and_b32 v6, 1, v6
	v_mov_b32_e32 v10, 0x90
	v_mov_b32_e32 v42, v2
	s_delay_alu instid0(VALU_DEP_4) | instskip(NEXT) | instid1(VALU_DEP_4)
	v_cmp_eq_u32_e64 s3, 0, v15
	v_cmp_eq_u32_e64 s4, 0, v6
	v_dual_mov_b32 v59, v3 :: v_dual_mov_b32 v58, v2
	v_dual_mov_b32 v9, v1 :: v_dual_mov_b32 v14, 0xb0
	s_delay_alu instid0(VALU_DEP_4) | instskip(SKIP_4) | instid1(VALU_DEP_4)
	v_cndmask_b32_e64 v77, 0x80, v11, s3
	v_lshlrev_b32_e32 v11, 4, v6
	v_cndmask_b32_e64 v83, 0x80, v10, s4
	v_dual_mov_b32 v13, v1 :: v_dual_mov_b32 v18, 0xd0
	v_mov_b32_e32 v25, v1
	v_xad_u32 v81, v11, 16, 0
	v_mov_b32_e32 v11, v3
	v_mov_b32_e32 v19, 0xe0
	v_xad_u32 v70, v23, 64, 0
	v_mov_b32_e32 v23, 0x70
	v_cndmask_b32_e64 v71, 0x80, v22, s2
	v_lshlrev_b32_e32 v22, 4, v15
	v_mov_b32_e32 v10, v2
	v_cmp_eq_u32_e32 vcc_lo, 0, v7
	v_mov_b32_e32 v7, 0xf0
	v_mov_b32_e32 v65, v1
	v_dual_mov_b32 v39, v3 :: v_dual_mov_b32 v38, v2
	v_mov_b32_e32 v51, v3
	v_mov_b32_e32 v55, v3
	v_dual_cndmask_b32 v67, 0x50, v18 :: v_dual_mov_b32 v62, 0
	v_cndmask_b32_e64 v72, 0x90, v18, s2
	v_xad_u32 v75, v22, 32, 0
	v_cndmask_b32_e64 v76, 0x50, v23, s3
	v_cndmask_b32_e64 v78, 0x90, v14, s3
	v_cndmask_b32_e64 v82, 0x60, v23, s4
	v_cndmask_b32_e64 v84, 0xa0, v14, s4
	v_cndmask_b32_e64 v85, 0xc0, v18, s4
	v_mov_b32_e32 v15, v3
	v_mov_b32_e32 v23, v3
	;; [unrolled: 1-line block ×4, first 2 shown]
	v_dual_mov_b32 v35, v3 :: v_dual_mov_b32 v50, v2
	v_dual_mov_b32 v21, v1 :: v_dual_cndmask_b32 v68, 0x60, v19
	v_cndmask_b32_e64 v73, 0xa0, v19, s2
	v_cndmask_b32_e64 v79, 0xc0, v19, s3
	v_dual_mov_b32 v19, v3 :: v_dual_mov_b32 v54, v2
	v_dual_cndmask_b32 v69, 0x70, v7 :: v_dual_mov_b32 v60, v64
	v_cndmask_b32_e64 v74, 0xb0, v7, s2
	v_cndmask_b32_e64 v80, 0xd0, v7, s3
	;; [unrolled: 1-line block ×3, first 2 shown]
	v_mov_b32_e32 v7, v3
	v_dual_mov_b32 v33, v1 :: v_dual_mov_b32 v6, v2
	v_dual_mov_b32 v37, v1 :: v_dual_mov_b32 v14, v2
	;; [unrolled: 1-line block ×7, first 2 shown]
	v_mov_b32_e32 v63, 0
	v_mov_b32_e32 v61, v65
	v_cndmask_b32_e64 v65, 16, 0x90, vcc_lo
	v_cndmask_b32_e64 v87, 32, 0xa0, vcc_lo
	v_cndmask_b32_e64 v88, 16, 0x50, s2
	v_cndmask_b32_e64 v89, 16, 48, s3
	;; [unrolled: 1-line block ×3, first 2 shown]
	v_cndmask_b32_e64 v91, 48, 0xb0, vcc_lo
	v_cndmask_b32_e64 v92, 64, 0xc0, vcc_lo
	v_cndmask_b32_e64 v93, 32, 0x60, s2
	v_cndmask_b32_e64 v94, 48, 0x70, s2
	;; [unrolled: 1-line block ×4, first 2 shown]
.LBB86_2:                               ; =>This Inner Loop Header: Depth=1
	s_waitcnt vmcnt(15)
	scratch_store_b128 off, v[60:63], off
	s_waitcnt vmcnt(9)
	scratch_store_b128 off, v[56:59], off offset:16
	s_waitcnt vmcnt(8)
	s_clause 0x5
	scratch_store_b128 off, v[52:55], off offset:32
	scratch_store_b128 off, v[48:51], off offset:48
	;; [unrolled: 1-line block ×6, first 2 shown]
	s_waitcnt vmcnt(7)
	scratch_store_b128 off, v[28:31], off offset:128
	scratch_load_b128 v[28:31], v66, off
	s_add_i32 s5, s5, -1
	s_delay_alu instid0(SALU_CYCLE_1)
	s_cmp_lg_u32 s5, 0
	s_waitcnt vmcnt(0)
	ds_swizzle_b32 v28, v28 offset:swizzle(SWAP,8)
	ds_swizzle_b32 v29, v29 offset:swizzle(SWAP,8)
	ds_swizzle_b32 v30, v30 offset:swizzle(SWAP,8)
	ds_swizzle_b32 v31, v31 offset:swizzle(SWAP,8)
	scratch_store_b128 off, v[24:27], off offset:144
	s_waitcnt lgkmcnt(0)
	scratch_store_b128 v66, v[28:31], off
	scratch_load_b128 v[24:27], v65, off
	s_waitcnt vmcnt(0)
	ds_swizzle_b32 v24, v24 offset:swizzle(SWAP,8)
	ds_swizzle_b32 v25, v25 offset:swizzle(SWAP,8)
	ds_swizzle_b32 v26, v26 offset:swizzle(SWAP,8)
	ds_swizzle_b32 v27, v27 offset:swizzle(SWAP,8)
	scratch_store_b128 off, v[20:23], off offset:160
	s_waitcnt lgkmcnt(0)
	scratch_store_b128 v65, v[24:27], off
	scratch_load_b128 v[20:23], v87, off
	;; [unrolled: 9-line block ×4, first 2 shown]
	s_waitcnt vmcnt(0)
	ds_swizzle_b32 v12, v12 offset:swizzle(SWAP,8)
	ds_swizzle_b32 v13, v13 offset:swizzle(SWAP,8)
	;; [unrolled: 1-line block ×4, first 2 shown]
	scratch_store_b128 off, v[8:11], off offset:208
	s_waitcnt lgkmcnt(0)
	scratch_store_b128 v92, v[12:15], off
	s_clause 0x1
	scratch_load_b128 v[8:11], v67, off
	scratch_load_b128 v[12:15], v70, off
	scratch_store_b128 off, v[4:7], off offset:224
	s_waitcnt vmcnt(1)
	ds_swizzle_b32 v4, v8 offset:swizzle(SWAP,8)
	ds_swizzle_b32 v5, v9 offset:swizzle(SWAP,8)
	;; [unrolled: 1-line block ×4, first 2 shown]
	s_waitcnt vmcnt(0)
	ds_swizzle_b32 v8, v12 offset:swizzle(SWAP,4)
	ds_swizzle_b32 v9, v13 offset:swizzle(SWAP,4)
	;; [unrolled: 1-line block ×4, first 2 shown]
	s_waitcnt lgkmcnt(4)
	scratch_store_b128 v67, v[4:7], off
	s_waitcnt lgkmcnt(0)
	scratch_store_b128 v70, v[8:11], off
	s_clause 0x1
	scratch_load_b128 v[4:7], v68, off
	scratch_load_b128 v[8:11], v88, off
	scratch_store_b128 off, v[0:3], off offset:240
	s_waitcnt vmcnt(1)
	ds_swizzle_b32 v0, v4 offset:swizzle(SWAP,8)
	ds_swizzle_b32 v1, v5 offset:swizzle(SWAP,8)
	ds_swizzle_b32 v2, v6 offset:swizzle(SWAP,8)
	ds_swizzle_b32 v3, v7 offset:swizzle(SWAP,8)
	s_waitcnt vmcnt(0)
	ds_swizzle_b32 v4, v8 offset:swizzle(SWAP,4)
	ds_swizzle_b32 v5, v9 offset:swizzle(SWAP,4)
	ds_swizzle_b32 v6, v10 offset:swizzle(SWAP,4)
	ds_swizzle_b32 v7, v11 offset:swizzle(SWAP,4)
	s_waitcnt lgkmcnt(4)
	scratch_store_b128 v68, v[0:3], off
	s_waitcnt lgkmcnt(0)
	scratch_store_b128 v88, v[4:7], off
	s_clause 0x1
	scratch_load_b128 v[0:3], v69, off
	scratch_load_b128 v[4:7], v93, off
	s_waitcnt vmcnt(1)
	ds_swizzle_b32 v0, v0 offset:swizzle(SWAP,8)
	ds_swizzle_b32 v1, v1 offset:swizzle(SWAP,8)
	ds_swizzle_b32 v2, v2 offset:swizzle(SWAP,8)
	ds_swizzle_b32 v3, v3 offset:swizzle(SWAP,8)
	s_waitcnt vmcnt(0)
	ds_swizzle_b32 v4, v4 offset:swizzle(SWAP,4)
	ds_swizzle_b32 v5, v5 offset:swizzle(SWAP,4)
	ds_swizzle_b32 v6, v6 offset:swizzle(SWAP,4)
	ds_swizzle_b32 v7, v7 offset:swizzle(SWAP,4)
	s_waitcnt lgkmcnt(4)
	scratch_store_b128 v69, v[0:3], off
	s_waitcnt lgkmcnt(0)
	scratch_store_b128 v93, v[4:7], off
	s_clause 0x1
	scratch_load_b128 v[0:3], v94, off
	scratch_load_b128 v[4:7], v71, off
	;; [unrolled: 17-line block ×4, first 2 shown]
	s_waitcnt vmcnt(1)
	ds_swizzle_b32 v0, v0 offset:swizzle(SWAP,4)
	ds_swizzle_b32 v1, v1 offset:swizzle(SWAP,4)
	;; [unrolled: 1-line block ×4, first 2 shown]
	s_waitcnt vmcnt(0)
	ds_swizzle_b32 v4, v4 offset:swizzle(SWAP,2)
	ds_swizzle_b32 v5, v5 offset:swizzle(SWAP,2)
	;; [unrolled: 1-line block ×4, first 2 shown]
	s_waitcnt lgkmcnt(4)
	scratch_store_b128 v73, v[0:3], off
	s_clause 0x1
	scratch_load_b128 v[0:3], v74, off
	scratch_load_b128 v[8:11], v95, off
	s_waitcnt vmcnt(1)
	ds_swizzle_b32 v0, v0 offset:swizzle(SWAP,4)
	ds_swizzle_b32 v1, v1 offset:swizzle(SWAP,4)
	ds_swizzle_b32 v2, v2 offset:swizzle(SWAP,4)
	ds_swizzle_b32 v3, v3 offset:swizzle(SWAP,4)
	s_waitcnt vmcnt(0)
	ds_swizzle_b32 v8, v8 offset:swizzle(SWAP,2)
	ds_swizzle_b32 v9, v9 offset:swizzle(SWAP,2)
	ds_swizzle_b32 v10, v10 offset:swizzle(SWAP,2)
	ds_swizzle_b32 v11, v11 offset:swizzle(SWAP,2)
	s_waitcnt lgkmcnt(4)
	scratch_store_b128 v74, v[0:3], off
	s_waitcnt lgkmcnt(0)
	scratch_store_b128 v95, v[8:11], off
	s_clause 0x1
	scratch_load_b128 v[0:3], v76, off
	scratch_load_b128 v[8:11], v77, off
	s_waitcnt vmcnt(1)
	ds_swizzle_b32 v0, v0 offset:swizzle(SWAP,2)
	ds_swizzle_b32 v1, v1 offset:swizzle(SWAP,2)
	ds_swizzle_b32 v2, v2 offset:swizzle(SWAP,2)
	ds_swizzle_b32 v3, v3 offset:swizzle(SWAP,2)
	s_waitcnt vmcnt(0)
	ds_swizzle_b32 v8, v8 offset:swizzle(SWAP,2)
	ds_swizzle_b32 v9, v9 offset:swizzle(SWAP,2)
	ds_swizzle_b32 v10, v10 offset:swizzle(SWAP,2)
	ds_swizzle_b32 v11, v11 offset:swizzle(SWAP,2)
	s_waitcnt lgkmcnt(4)
	scratch_store_b128 v76, v[0:3], off
	;; [unrolled: 17-line block ×3, first 2 shown]
	s_waitcnt lgkmcnt(0)
	scratch_store_b128 v79, v[8:11], off
	scratch_load_b128 v[0:3], v80, off
	scratch_store_b128 v89, v[4:7], off
	s_clause 0x5
	scratch_load_b128 v[4:7], v81, off
	scratch_load_b128 v[8:11], v90, off
	;; [unrolled: 1-line block ×6, first 2 shown]
	s_waitcnt vmcnt(5)
	ds_swizzle_b32 v4, v4 offset:swizzle(SWAP,1)
	ds_swizzle_b32 v0, v0 offset:swizzle(SWAP,2)
	;; [unrolled: 1-line block ×5, first 2 shown]
	s_waitcnt vmcnt(4)
	ds_swizzle_b32 v8, v8 offset:swizzle(SWAP,1)
	ds_swizzle_b32 v9, v9 offset:swizzle(SWAP,1)
	;; [unrolled: 1-line block ×7, first 2 shown]
	s_waitcnt vmcnt(3)
	ds_swizzle_b32 v12, v12 offset:swizzle(SWAP,1)
	ds_swizzle_b32 v13, v13 offset:swizzle(SWAP,1)
	;; [unrolled: 1-line block ×4, first 2 shown]
	s_waitcnt lgkmcnt(11)
	scratch_store_b128 v80, v[0:3], off
	s_clause 0x1
	scratch_load_b128 v[0:3], v85, off
	scratch_load_b128 v[28:31], v86, off
	s_waitcnt lgkmcnt(7)
	scratch_store_b128 v90, v[8:11], off
	s_waitcnt vmcnt(4)
	ds_swizzle_b32 v8, v16 offset:swizzle(SWAP,1)
	ds_swizzle_b32 v9, v17 offset:swizzle(SWAP,1)
	s_waitcnt lgkmcnt(6)
	scratch_store_b128 v81, v[4:7], off
	ds_swizzle_b32 v10, v18 offset:swizzle(SWAP,1)
	ds_swizzle_b32 v11, v19 offset:swizzle(SWAP,1)
	s_waitcnt vmcnt(3)
	ds_swizzle_b32 v16, v20 offset:swizzle(SWAP,1)
	ds_swizzle_b32 v17, v21 offset:swizzle(SWAP,1)
	;; [unrolled: 1-line block ×4, first 2 shown]
	s_waitcnt vmcnt(2)
	ds_swizzle_b32 v4, v24 offset:swizzle(SWAP,1)
	ds_swizzle_b32 v5, v25 offset:swizzle(SWAP,1)
	;; [unrolled: 1-line block ×4, first 2 shown]
	s_waitcnt lgkmcnt(12)
	scratch_store_b128 v96, v[12:15], off
	s_clause 0x3
	scratch_load_b128 v[60:63], off, off
	scratch_load_b128 v[48:51], off, off offset:48
	scratch_load_b128 v[44:47], off, off offset:64
	;; [unrolled: 1-line block ×3, first 2 shown]
	s_waitcnt lgkmcnt(8)
	scratch_store_b128 v82, v[8:11], off
	s_clause 0x1
	scratch_load_b128 v[36:39], off, off offset:96
	scratch_load_b128 v[32:35], off, off offset:112
	s_waitcnt lgkmcnt(4)
	scratch_store_b128 v83, v[16:19], off
	s_waitcnt vmcnt(7)
	ds_swizzle_b32 v0, v0 offset:swizzle(SWAP,1)
	ds_swizzle_b32 v1, v1 offset:swizzle(SWAP,1)
	;; [unrolled: 1-line block ×4, first 2 shown]
	s_waitcnt vmcnt(6)
	ds_swizzle_b32 v97, v28 offset:swizzle(SWAP,1)
	ds_swizzle_b32 v98, v29 offset:swizzle(SWAP,1)
	;; [unrolled: 1-line block ×4, first 2 shown]
	s_clause 0x3
	scratch_load_b128 v[56:59], off, off offset:16
	scratch_load_b128 v[52:55], off, off offset:32
	;; [unrolled: 1-line block ×4, first 2 shown]
	s_waitcnt lgkmcnt(8)
	scratch_store_b128 v84, v[4:7], off
	s_clause 0x1
	scratch_load_b128 v[20:23], off, off offset:160
	scratch_load_b128 v[16:19], off, off offset:176
	s_waitcnt lgkmcnt(4)
	scratch_store_b128 v85, v[0:3], off
	s_waitcnt lgkmcnt(0)
	scratch_store_b128 v86, v[97:100], off
	s_clause 0x3
	scratch_load_b128 v[12:15], off, off offset:192
	scratch_load_b128 v[8:11], off, off offset:208
	;; [unrolled: 1-line block ×4, first 2 shown]
	; wave barrier
	s_cbranch_scc1 .LBB86_2
	s_branch .LBB86_4
.LBB86_3:
	v_dual_mov_b32 v65, 0 :: v_dual_mov_b32 v2, 0
	v_dual_mov_b32 v3, 0 :: v_dual_mov_b32 v62, 0
	v_dual_mov_b32 v63, 0 :: v_dual_mov_b32 v60, v64
	s_delay_alu instid0(VALU_DEP_2)
	v_dual_mov_b32 v57, v65 :: v_dual_mov_b32 v58, v62
	v_dual_mov_b32 v53, v65 :: v_dual_mov_b32 v54, v62
	v_dual_mov_b32 v49, v65 :: v_dual_mov_b32 v50, v62
	v_dual_mov_b32 v45, v65 :: v_dual_mov_b32 v46, v62
	v_dual_mov_b32 v41, v65 :: v_dual_mov_b32 v42, v62
	v_dual_mov_b32 v37, v65 :: v_dual_mov_b32 v38, v62
	v_dual_mov_b32 v33, v65 :: v_dual_mov_b32 v34, v62
	v_dual_mov_b32 v29, v65 :: v_dual_mov_b32 v30, v62
	v_dual_mov_b32 v25, v65 :: v_dual_mov_b32 v26, v62
	v_dual_mov_b32 v21, v65 :: v_dual_mov_b32 v22, v62
	v_dual_mov_b32 v17, v65 :: v_dual_mov_b32 v18, v62
	v_dual_mov_b32 v13, v65 :: v_dual_mov_b32 v14, v62
	v_dual_mov_b32 v9, v65 :: v_dual_mov_b32 v10, v62
	v_dual_mov_b32 v5, v65 :: v_dual_mov_b32 v6, v62
	v_mov_b32_e32 v1, v65
	v_mov_b32_e32 v61, v65
	;; [unrolled: 1-line block ×16, first 2 shown]
.LBB86_4:
	s_load_b64 s[0:1], s[0:1], 0x0
	v_lshl_or_b32 v64, s15, 12, v64
	v_mov_b32_e32 v65, 0
	s_delay_alu instid0(VALU_DEP_1) | instskip(SKIP_1) | instid1(VALU_DEP_1)
	v_lshlrev_b64 v[64:65], 4, v[64:65]
	s_waitcnt lgkmcnt(0)
	v_add_co_u32 v64, vcc_lo, s0, v64
	s_delay_alu instid0(VALU_DEP_2)
	v_add_co_ci_u32_e32 v65, vcc_lo, s1, v65, vcc_lo
	s_waitcnt vmcnt(15)
	global_store_b128 v[64:65], v[60:63], off
	s_waitcnt vmcnt(9)
	global_store_b128 v[64:65], v[56:59], off offset:16
	s_waitcnt vmcnt(8)
	s_clause 0x5
	global_store_b128 v[64:65], v[52:55], off offset:32
	global_store_b128 v[64:65], v[48:51], off offset:48
	;; [unrolled: 1-line block ×6, first 2 shown]
	s_waitcnt vmcnt(7)
	global_store_b128 v[64:65], v[28:31], off offset:128
	s_waitcnt vmcnt(6)
	global_store_b128 v[64:65], v[24:27], off offset:144
	;; [unrolled: 2-line block ×8, first 2 shown]
	s_endpgm
	.section	.rodata,"a",@progbits
	.p2align	6, 0x0
	.amdhsa_kernel _Z20warp_exchange_kernelILj256ELj16ELj16EN6common25StripedToBlockedShuffleOpEoEvPT3_j
		.amdhsa_group_segment_fixed_size 0
		.amdhsa_private_segment_fixed_size 272
		.amdhsa_kernarg_size 12
		.amdhsa_user_sgpr_count 15
		.amdhsa_user_sgpr_dispatch_ptr 0
		.amdhsa_user_sgpr_queue_ptr 0
		.amdhsa_user_sgpr_kernarg_segment_ptr 1
		.amdhsa_user_sgpr_dispatch_id 0
		.amdhsa_user_sgpr_private_segment_size 0
		.amdhsa_wavefront_size32 1
		.amdhsa_uses_dynamic_stack 0
		.amdhsa_enable_private_segment 1
		.amdhsa_system_sgpr_workgroup_id_x 1
		.amdhsa_system_sgpr_workgroup_id_y 0
		.amdhsa_system_sgpr_workgroup_id_z 0
		.amdhsa_system_sgpr_workgroup_info 0
		.amdhsa_system_vgpr_workitem_id 0
		.amdhsa_next_free_vgpr 101
		.amdhsa_next_free_sgpr 16
		.amdhsa_reserve_vcc 1
		.amdhsa_float_round_mode_32 0
		.amdhsa_float_round_mode_16_64 0
		.amdhsa_float_denorm_mode_32 3
		.amdhsa_float_denorm_mode_16_64 3
		.amdhsa_dx10_clamp 1
		.amdhsa_ieee_mode 1
		.amdhsa_fp16_overflow 0
		.amdhsa_workgroup_processor_mode 1
		.amdhsa_memory_ordered 1
		.amdhsa_forward_progress 0
		.amdhsa_shared_vgpr_count 0
		.amdhsa_exception_fp_ieee_invalid_op 0
		.amdhsa_exception_fp_denorm_src 0
		.amdhsa_exception_fp_ieee_div_zero 0
		.amdhsa_exception_fp_ieee_overflow 0
		.amdhsa_exception_fp_ieee_underflow 0
		.amdhsa_exception_fp_ieee_inexact 0
		.amdhsa_exception_int_div_zero 0
	.end_amdhsa_kernel
	.section	.text._Z20warp_exchange_kernelILj256ELj16ELj16EN6common25StripedToBlockedShuffleOpEoEvPT3_j,"axG",@progbits,_Z20warp_exchange_kernelILj256ELj16ELj16EN6common25StripedToBlockedShuffleOpEoEvPT3_j,comdat
.Lfunc_end86:
	.size	_Z20warp_exchange_kernelILj256ELj16ELj16EN6common25StripedToBlockedShuffleOpEoEvPT3_j, .Lfunc_end86-_Z20warp_exchange_kernelILj256ELj16ELj16EN6common25StripedToBlockedShuffleOpEoEvPT3_j
                                        ; -- End function
	.section	.AMDGPU.csdata,"",@progbits
; Kernel info:
; codeLenInByte = 3372
; NumSgprs: 18
; NumVgprs: 101
; ScratchSize: 272
; MemoryBound: 0
; FloatMode: 240
; IeeeMode: 1
; LDSByteSize: 0 bytes/workgroup (compile time only)
; SGPRBlocks: 2
; VGPRBlocks: 12
; NumSGPRsForWavesPerEU: 18
; NumVGPRsForWavesPerEU: 101
; Occupancy: 12
; WaveLimiterHint : 0
; COMPUTE_PGM_RSRC2:SCRATCH_EN: 1
; COMPUTE_PGM_RSRC2:USER_SGPR: 15
; COMPUTE_PGM_RSRC2:TRAP_HANDLER: 0
; COMPUTE_PGM_RSRC2:TGID_X_EN: 1
; COMPUTE_PGM_RSRC2:TGID_Y_EN: 0
; COMPUTE_PGM_RSRC2:TGID_Z_EN: 0
; COMPUTE_PGM_RSRC2:TIDIG_COMP_CNT: 0
	.section	.text._Z20warp_exchange_kernelILj256ELj16ELj32EN6common25StripedToBlockedShuffleOpEoEvPT3_j,"axG",@progbits,_Z20warp_exchange_kernelILj256ELj16ELj32EN6common25StripedToBlockedShuffleOpEoEvPT3_j,comdat
	.protected	_Z20warp_exchange_kernelILj256ELj16ELj32EN6common25StripedToBlockedShuffleOpEoEvPT3_j ; -- Begin function _Z20warp_exchange_kernelILj256ELj16ELj32EN6common25StripedToBlockedShuffleOpEoEvPT3_j
	.globl	_Z20warp_exchange_kernelILj256ELj16ELj32EN6common25StripedToBlockedShuffleOpEoEvPT3_j
	.p2align	8
	.type	_Z20warp_exchange_kernelILj256ELj16ELj32EN6common25StripedToBlockedShuffleOpEoEvPT3_j,@function
_Z20warp_exchange_kernelILj256ELj16ELj32EN6common25StripedToBlockedShuffleOpEoEvPT3_j: ; @_Z20warp_exchange_kernelILj256ELj16ELj32EN6common25StripedToBlockedShuffleOpEoEvPT3_j
; %bb.0:
	s_load_b32 s2, s[0:1], 0x8
	v_lshlrev_b32_e32 v72, 4, v0
	s_delay_alu instid0(VALU_DEP_1)
	v_or_b32_e32 v20, 1, v72
	v_or_b32_e32 v60, 2, v72
	;; [unrolled: 1-line block ×15, first 2 shown]
	s_waitcnt lgkmcnt(0)
	s_cmp_eq_u32 s2, 0
	s_cbranch_scc1 .LBB87_3
; %bb.1:
	v_mbcnt_lo_u32_b32 v6, -1, 0
	v_dual_mov_b32 v1, 0 :: v_dual_mov_b32 v18, 0
	v_dual_mov_b32 v19, 0 :: v_dual_mov_b32 v2, 0
	s_delay_alu instid0(VALU_DEP_3) | instskip(SKIP_1) | instid1(VALU_DEP_4)
	v_dual_mov_b32 v3, 0 :: v_dual_add_nc_u32 v10, 24, v6
	v_add_nc_u32_e32 v7, 28, v6
	v_mov_b32_e32 v5, v1
	v_add_nc_u32_e32 v11, 20, v6
	s_delay_alu instid0(VALU_DEP_4) | instskip(NEXT) | instid1(VALU_DEP_4)
	v_dual_mov_b32 v35, v3 :: v_dual_and_b32 v10, 31, v10
	v_and_b32_e32 v7, 31, v7
	v_mov_b32_e32 v9, v1
	v_mov_b32_e32 v13, v1
	v_dual_mov_b32 v33, v1 :: v_dual_add_nc_u32 v14, 4, v6
	s_delay_alu instid0(VALU_DEP_4) | instskip(SKIP_4) | instid1(VALU_DEP_4)
	v_lshlrev_b32_e32 v74, 2, v7
	v_dual_mov_b32 v34, v2 :: v_dual_add_nc_u32 v7, 12, v6
	v_and_b32_e32 v11, 31, v11
	v_lshlrev_b32_e32 v75, 2, v10
	v_add_nc_u32_e32 v10, 8, v6
	v_and_b32_e32 v7, 31, v7
	v_mov_b32_e32 v31, v3
	v_dual_mov_b32 v47, v3 :: v_dual_mov_b32 v46, v2
	s_delay_alu instid0(VALU_DEP_4) | instskip(NEXT) | instid1(VALU_DEP_4)
	v_dual_mov_b32 v37, v1 :: v_dual_and_b32 v10, 31, v10
	v_dual_mov_b32 v25, v1 :: v_dual_lshlrev_b32 v78, 2, v7
	v_lshrrev_b32_e32 v15, 2, v6
	v_dual_mov_b32 v30, v2 :: v_dual_and_b32 v7, 31, v14
	v_dual_mov_b32 v29, v1 :: v_dual_lshlrev_b32 v76, 2, v11
	v_lshlrev_b32_e32 v11, 2, v6
	v_dual_mov_b32 v27, v3 :: v_dual_mov_b32 v26, v2
	v_mov_b32_e32 v51, v3
	v_mov_b32_e32 v45, v1
	v_dual_mov_b32 v49, v1 :: v_dual_add_nc_u32 v14, 5, v15
	v_xor_b32_e32 v77, 64, v11
	v_lshlrev_b32_e32 v79, 2, v10
	v_add_nc_u32_e32 v10, -1, v15
	v_dual_mov_b32 v50, v2 :: v_dual_add_nc_u32 v11, 6, v15
	v_dual_mov_b32 v53, v1 :: v_dual_lshlrev_b32 v80, 2, v7
	v_xor_b32_e32 v7, 4, v15
	v_mov_b32_e32 v43, v3
	v_dual_mov_b32 v41, v1 :: v_dual_and_b32 v10, 7, v10
	v_dual_mov_b32 v57, v1 :: v_dual_and_b32 v14, 7, v14
	v_lshl_add_u32 v81, v15, 4, 0
	v_dual_mov_b32 v42, v2 :: v_dual_add_nc_u32 v15, 7, v7
	v_and_b32_e32 v11, 7, v11
	v_dual_mov_b32 v59, v3 :: v_dual_mov_b32 v58, v2
	v_mov_b32_e32 v63, v3
	v_mov_b32_e32 v61, v1
	;; [unrolled: 1-line block ×3, first 2 shown]
	v_lshl_add_u32 v82, v10, 4, 0
	v_lshl_add_u32 v83, v11, 4, 0
	;; [unrolled: 1-line block ×3, first 2 shown]
	v_and_b32_e32 v14, 3, v6
	v_add_nc_u32_e32 v10, 6, v7
	v_dual_mov_b32 v62, v2 :: v_dual_and_b32 v11, 7, v15
	v_dual_mov_b32 v23, v3 :: v_dual_mov_b32 v22, v2
	s_delay_alu instid0(VALU_DEP_3)
	v_dual_mov_b32 v73, v1 :: v_dual_and_b32 v16, 7, v10
	v_lshl_add_u32 v85, v7, 4, 0
	v_lshl_or_b32 v15, v15, 4, 0x80
	v_lshl_add_u32 v86, v11, 4, 0
	v_add_nc_u32_e32 v7, 5, v7
	v_xor_b32_e32 v11, 2, v14
	v_lshl_add_u32 v88, v16, 4, 0
	v_add_nc_u32_e32 v87, 0, v15
	v_add_nc_u32_e32 v6, -1, v6
	v_and_b32_e32 v15, 7, v7
	v_add_nc_u32_e32 v16, 3, v11
	v_lshl_or_b32 v7, v7, 4, 0x80
	v_lshl_or_b32 v10, v10, 4, 0x80
	v_dual_mov_b32 v39, v3 :: v_dual_and_b32 v6, 3, v6
	v_lshl_add_u32 v92, v14, 4, 0x100
	s_delay_alu instid0(VALU_DEP_4)
	v_add_nc_u32_e32 v91, 0, v7
	v_and_b32_e32 v7, 3, v16
	v_add_nc_u32_e32 v89, 0, v10
	v_lshl_add_u32 v93, v6, 4, 0x100
	v_lshl_add_u32 v90, v15, 4, 0
	;; [unrolled: 1-line block ×4, first 2 shown]
	v_dual_mov_b32 v7, v3 :: v_dual_lshlrev_b32 v10, 4, v16
	v_dual_mov_b32 v55, v3 :: v_dual_mov_b32 v16, v72
	v_mov_b32_e32 v6, v2
	v_mov_b32_e32 v38, v2
	s_delay_alu instid0(VALU_DEP_4) | instskip(SKIP_1) | instid1(VALU_DEP_2)
	v_or_b32_e32 v14, 64, v10
	v_dual_mov_b32 v54, v2 :: v_dual_mov_b32 v17, v73
	v_dual_mov_b32 v15, v3 :: v_dual_add_nc_u32 v96, 0x100, v14
	v_or_b32_e32 v10, 0xc0, v10
	s_delay_alu instid0(VALU_DEP_1)
	v_dual_mov_b32 v14, v2 :: v_dual_add_nc_u32 v97, 0x100, v10
	v_dual_mov_b32 v11, v3 :: v_dual_mov_b32 v10, v2
.LBB87_2:                               ; =>This Inner Loop Header: Depth=1
	ds_bpermute_b32 v64, v74, v60
	ds_bpermute_b32 v65, v74, v61
	ds_bpermute_b32 v66, v74, v62
	ds_bpermute_b32 v67, v74, v63
	s_clause 0x1
	scratch_store_b128 off, v[60:63], off offset:32
	scratch_store_b128 off, v[56:59], off offset:48
	ds_bpermute_b32 v56, v74, v56
	ds_bpermute_b32 v57, v74, v57
	ds_bpermute_b32 v58, v74, v58
	ds_bpermute_b32 v59, v74, v59
	ds_bpermute_b32 v60, v75, v40
	ds_bpermute_b32 v61, v75, v41
	ds_bpermute_b32 v62, v75, v42
	ds_bpermute_b32 v63, v75, v43
	s_clause 0x1
	scratch_store_b128 off, v[40:43], off offset:64
	scratch_store_b128 off, v[52:55], off offset:80
	ds_bpermute_b32 v40, v75, v52
	ds_bpermute_b32 v41, v75, v53
	ds_bpermute_b32 v42, v75, v54
	ds_bpermute_b32 v43, v75, v55
	;; [unrolled: 11-line block ×5, first 2 shown]
	ds_bpermute_b32 v32, v79, v12
	ds_bpermute_b32 v33, v79, v13
	;; [unrolled: 1-line block ×4, first 2 shown]
	s_clause 0x3
	scratch_store_b128 off, v[16:19], off
	scratch_store_b128 off, v[20:23], off offset:16
	scratch_store_b128 off, v[12:15], off offset:192
	;; [unrolled: 1-line block ×3, first 2 shown]
	ds_bpermute_b32 v12, v79, v8
	ds_bpermute_b32 v13, v79, v9
	;; [unrolled: 1-line block ×8, first 2 shown]
	s_clause 0x1
	scratch_store_b128 off, v[4:7], off offset:224
	scratch_store_b128 off, v[0:3], off offset:240
	s_clause 0x1
	scratch_store_b128 v81, v[16:19], off
	scratch_store_b128 v81, v[20:23], off offset:128
	s_waitcnt lgkmcnt(48)
	scratch_store_b128 v82, v[64:67], off
	s_waitcnt lgkmcnt(44)
	scratch_store_b128 v82, v[56:59], off offset:128
	s_waitcnt lgkmcnt(40)
	scratch_store_b128 v83, v[60:63], off
	s_waitcnt lgkmcnt(36)
	;; [unrolled: 4-line block ×5, first 2 shown]
	scratch_store_b128 v87, v[28:31], off
	s_waitcnt lgkmcnt(8)
	scratch_store_b128 v88, v[32:35], off
	s_waitcnt lgkmcnt(4)
	;; [unrolled: 2-line block ×3, first 2 shown]
	scratch_store_b128 v90, v[8:11], off
	ds_bpermute_b32 v4, v80, v0
	ds_bpermute_b32 v5, v80, v1
	;; [unrolled: 1-line block ×4, first 2 shown]
	s_clause 0x6
	scratch_load_b128 v[0:3], off, off offset:64
	scratch_load_b128 v[8:11], off, off offset:80
	;; [unrolled: 1-line block ×7, first 2 shown]
	s_add_i32 s2, s2, -1
	s_delay_alu instid0(SALU_CYCLE_1)
	s_cmp_lg_u32 s2, 0
	s_waitcnt lgkmcnt(0)
	scratch_store_b128 v91, v[4:7], off
	s_clause 0x8
	scratch_load_b128 v[4:7], off, off offset:144
	scratch_load_b128 v[32:35], off, off offset:160
	scratch_load_b128 v[36:39], off, off offset:176
	scratch_load_b128 v[40:43], off, off offset:192
	scratch_load_b128 v[44:47], off, off offset:208
	scratch_load_b128 v[48:51], off, off offset:224
	scratch_load_b128 v[52:55], off, off offset:240
	scratch_load_b128 v[56:59], off, off offset:128
	scratch_load_b128 v[60:63], off, off
	s_waitcnt vmcnt(15)
	ds_bpermute_b32 v0, v77, v0
	ds_bpermute_b32 v1, v77, v1
	ds_bpermute_b32 v2, v77, v2
	ds_bpermute_b32 v3, v77, v3
	s_waitcnt vmcnt(14)
	ds_bpermute_b32 v8, v76, v8
	ds_bpermute_b32 v9, v76, v9
	ds_bpermute_b32 v10, v76, v10
	ds_bpermute_b32 v11, v76, v11
	s_waitcnt vmcnt(13)
	ds_bpermute_b32 v12, v78, v12
	ds_bpermute_b32 v13, v78, v13
	ds_bpermute_b32 v14, v78, v14
	ds_bpermute_b32 v15, v78, v15
	s_waitcnt vmcnt(12)
	ds_bpermute_b32 v16, v75, v16
	ds_bpermute_b32 v17, v75, v17
	ds_bpermute_b32 v18, v75, v18
	ds_bpermute_b32 v19, v75, v19
	s_waitcnt vmcnt(9)
	ds_bpermute_b32 v28, v74, v28
	ds_bpermute_b32 v29, v74, v29
	ds_bpermute_b32 v30, v74, v30
	ds_bpermute_b32 v31, v74, v31
	ds_bpermute_b32 v24, v79, v24
	ds_bpermute_b32 v25, v79, v25
	;; [unrolled: 1-line block ×3, first 2 shown]
	s_waitcnt lgkmcnt(19)
	scratch_store_b128 off, v[0:3], off offset:64
	scratch_load_b128 v[0:3], off, off offset:64
	ds_bpermute_b32 v27, v79, v27
	ds_bpermute_b32 v20, v80, v20
	s_waitcnt lgkmcnt(17)
	scratch_store_b128 off, v[8:11], off offset:80
	scratch_load_b128 v[8:11], off, off offset:80
	ds_bpermute_b32 v21, v80, v21
	ds_bpermute_b32 v22, v80, v22
	s_waitcnt lgkmcnt(15)
	scratch_store_b128 off, v[12:15], off offset:48
	ds_bpermute_b32 v23, v80, v23
	s_waitcnt vmcnt(10)
	ds_bpermute_b32 v4, v80, v4
	ds_bpermute_b32 v5, v80, v5
	ds_bpermute_b32 v6, v80, v6
	ds_bpermute_b32 v7, v80, v7
	s_waitcnt vmcnt(9)
	ds_bpermute_b32 v32, v79, v32
	ds_bpermute_b32 v33, v79, v33
	ds_bpermute_b32 v34, v79, v34
	ds_bpermute_b32 v35, v79, v35
	s_waitcnt vmcnt(8)
	ds_bpermute_b32 v36, v78, v36
	ds_bpermute_b32 v37, v78, v37
	ds_bpermute_b32 v38, v78, v38
	ds_bpermute_b32 v39, v78, v39
	s_waitcnt vmcnt(7)
	ds_bpermute_b32 v40, v77, v40
	ds_bpermute_b32 v41, v77, v41
	ds_bpermute_b32 v42, v77, v42
	ds_bpermute_b32 v43, v77, v43
	s_waitcnt vmcnt(4)
	ds_bpermute_b32 v68, v74, v52
	ds_bpermute_b32 v69, v74, v53
	ds_bpermute_b32 v70, v74, v54
	ds_bpermute_b32 v71, v74, v55
	ds_bpermute_b32 v64, v75, v48
	;; [unrolled: 1-line block ×9, first 2 shown]
	s_waitcnt vmcnt(3)
	v_mov_b32_dpp v48, v56 quad_perm:[2,3,0,1] row_mask:0xf bank_mask:0xf
	v_mov_b32_dpp v49, v57 quad_perm:[2,3,0,1] row_mask:0xf bank_mask:0xf
	;; [unrolled: 1-line block ×4, first 2 shown]
	s_waitcnt lgkmcnt(43)
	v_mov_b32_dpp v52, v16 quad_perm:[3,0,1,2] row_mask:0xf bank_mask:0xf
	s_waitcnt lgkmcnt(42)
	v_mov_b32_dpp v53, v17 quad_perm:[3,0,1,2] row_mask:0xf bank_mask:0xf
	;; [unrolled: 2-line block ×4, first 2 shown]
	scratch_store_b128 v92, v[12:15], off offset:192
	s_waitcnt lgkmcnt(32)
	scratch_store_b128 v92, v[24:27], off offset:128
	s_waitcnt vmcnt(2)
	scratch_store_b128 v92, v[60:63], off
	s_waitcnt lgkmcnt(28)
	scratch_store_b128 v92, v[20:23], off offset:64
	v_mov_b32_dpp v12, v28 quad_perm:[3,0,1,2] row_mask:0xf bank_mask:0xf
	v_mov_b32_dpp v13, v29 quad_perm:[3,0,1,2] row_mask:0xf bank_mask:0xf
	;; [unrolled: 1-line block ×4, first 2 shown]
	s_waitcnt lgkmcnt(27)
	v_mov_b32_dpp v56, v4 quad_perm:[2,3,0,1] row_mask:0xf bank_mask:0xf
	s_waitcnt lgkmcnt(26)
	v_mov_b32_dpp v57, v5 quad_perm:[2,3,0,1] row_mask:0xf bank_mask:0xf
	s_waitcnt lgkmcnt(25)
	v_mov_b32_dpp v58, v6 quad_perm:[2,3,0,1] row_mask:0xf bank_mask:0xf
	s_waitcnt lgkmcnt(24)
	v_mov_b32_dpp v59, v7 quad_perm:[2,3,0,1] row_mask:0xf bank_mask:0xf
	s_clause 0x1
	scratch_store_b128 v93, v[52:55], off offset:128
	scratch_store_b128 v93, v[12:15], off offset:192
	s_waitcnt lgkmcnt(23)
	v_mov_b32_dpp v52, v32 quad_perm:[2,3,0,1] row_mask:0xf bank_mask:0xf
	s_waitcnt lgkmcnt(22)
	v_mov_b32_dpp v53, v33 quad_perm:[2,3,0,1] row_mask:0xf bank_mask:0xf
	;; [unrolled: 2-line block ×8, first 2 shown]
	s_waitcnt vmcnt(1)
	v_mov_b32_dpp v0, v0 quad_perm:[3,0,1,2] row_mask:0xf bank_mask:0xf
	v_mov_b32_dpp v1, v1 quad_perm:[3,0,1,2] row_mask:0xf bank_mask:0xf
	;; [unrolled: 1-line block ×4, first 2 shown]
	s_waitcnt vmcnt(0)
	v_mov_b32_dpp v8, v8 quad_perm:[3,0,1,2] row_mask:0xf bank_mask:0xf
	v_mov_b32_dpp v9, v9 quad_perm:[3,0,1,2] row_mask:0xf bank_mask:0xf
	;; [unrolled: 1-line block ×4, first 2 shown]
	scratch_store_b128 v93, v[0:3], off
	s_waitcnt lgkmcnt(15)
	v_mov_b32_dpp v0, v40 quad_perm:[1,2,3,0] row_mask:0xf bank_mask:0xf
	s_waitcnt lgkmcnt(14)
	v_mov_b32_dpp v1, v41 quad_perm:[1,2,3,0] row_mask:0xf bank_mask:0xf
	s_clause 0x1
	scratch_store_b128 v94, v[48:51], off
	scratch_store_b128 v93, v[8:11], off offset:64
	s_waitcnt lgkmcnt(11)
	v_mov_b32_dpp v48, v68 quad_perm:[1,2,3,0] row_mask:0xf bank_mask:0xf
	s_waitcnt lgkmcnt(10)
	v_mov_b32_dpp v49, v69 quad_perm:[1,2,3,0] row_mask:0xf bank_mask:0xf
	v_mov_b32_dpp v2, v42 quad_perm:[1,2,3,0] row_mask:0xf bank_mask:0xf
	;; [unrolled: 1-line block ×3, first 2 shown]
	s_waitcnt lgkmcnt(9)
	v_mov_b32_dpp v50, v70 quad_perm:[1,2,3,0] row_mask:0xf bank_mask:0xf
	s_waitcnt lgkmcnt(8)
	v_mov_b32_dpp v51, v71 quad_perm:[1,2,3,0] row_mask:0xf bank_mask:0xf
	s_waitcnt lgkmcnt(7)
	v_mov_b32_dpp v8, v64 quad_perm:[1,2,3,0] row_mask:0xf bank_mask:0xf
	s_waitcnt lgkmcnt(6)
	v_mov_b32_dpp v9, v65 quad_perm:[1,2,3,0] row_mask:0xf bank_mask:0xf
	s_waitcnt lgkmcnt(5)
	v_mov_b32_dpp v10, v66 quad_perm:[1,2,3,0] row_mask:0xf bank_mask:0xf
	s_waitcnt lgkmcnt(4)
	v_mov_b32_dpp v11, v67 quad_perm:[1,2,3,0] row_mask:0xf bank_mask:0xf
	s_clause 0x3
	scratch_store_b128 v94, v[52:55], off offset:128
	scratch_store_b128 v95, v[8:11], off offset:128
	;; [unrolled: 1-line block ×4, first 2 shown]
	s_waitcnt lgkmcnt(3)
	v_mov_b32_dpp v12, v44 quad_perm:[1,2,3,0] row_mask:0xf bank_mask:0xf
	s_waitcnt lgkmcnt(2)
	v_mov_b32_dpp v13, v45 quad_perm:[1,2,3,0] row_mask:0xf bank_mask:0xf
	;; [unrolled: 2-line block ×4, first 2 shown]
	s_clause 0x1
	scratch_store_b128 v97, v[48:51], off
	scratch_store_b128 v95, v[0:3], off
	s_clause 0x1
	scratch_store_b128 off, v[20:23], off offset:16
	scratch_store_b128 off, v[24:27], off offset:32
	s_clause 0x3
	scratch_load_b128 v[20:23], off, off offset:480
	scratch_load_b128 v[60:63], off, off offset:496
	;; [unrolled: 1-line block ×4, first 2 shown]
	scratch_store_b128 v96, v[12:15], off
	s_clause 0x3
	scratch_load_b128 v[8:11], off, off offset:400
	scratch_load_b128 v[52:55], off, off offset:416
	;; [unrolled: 1-line block ×4, first 2 shown]
	s_clause 0x1
	scratch_store_b128 off, v[16:19], off offset:96
	scratch_store_b128 off, v[28:31], off offset:112
	s_clause 0x1
	scratch_load_b128 v[106:109], off, off offset:304
	scratch_load_b128 v[110:113], off, off offset:336
	s_clause 0x4
	scratch_store_b128 off, v[4:7], off offset:144
	scratch_store_b128 off, v[32:35], off offset:160
	;; [unrolled: 1-line block ×5, first 2 shown]
	s_clause 0x3
	scratch_load_b128 v[24:27], off, off offset:384
	scratch_load_b128 v[16:19], off, off offset:256
	;; [unrolled: 1-line block ×4, first 2 shown]
	s_waitcnt vmcnt(13)
	v_mov_b32_dpp v4, v20 quad_perm:[2,3,0,1] row_mask:0xf bank_mask:0xf
	v_mov_b32_dpp v5, v21 quad_perm:[2,3,0,1] row_mask:0xf bank_mask:0xf
	;; [unrolled: 1-line block ×4, first 2 shown]
	s_waitcnt vmcnt(11)
	v_mov_b32_dpp v20, v98 quad_perm:[1,2,3,0] row_mask:0xf bank_mask:0xf
	v_mov_b32_dpp v21, v99 quad_perm:[1,2,3,0] row_mask:0xf bank_mask:0xf
	v_mov_b32_dpp v22, v100 quad_perm:[1,2,3,0] row_mask:0xf bank_mask:0xf
	v_mov_b32_dpp v23, v101 quad_perm:[1,2,3,0] row_mask:0xf bank_mask:0xf
	s_clause 0x1
	scratch_load_b128 v[44:47], off, off offset:352
	scratch_load_b128 v[98:101], off, off offset:368
	s_waitcnt vmcnt(11)
	v_mov_b32_dpp v36, v8 quad_perm:[1,2,3,0] row_mask:0xf bank_mask:0xf
	v_mov_b32_dpp v37, v9 quad_perm:[1,2,3,0] row_mask:0xf bank_mask:0xf
	v_mov_b32_dpp v38, v10 quad_perm:[1,2,3,0] row_mask:0xf bank_mask:0xf
	v_mov_b32_dpp v39, v11 quad_perm:[1,2,3,0] row_mask:0xf bank_mask:0xf
	s_waitcnt vmcnt(10)
	v_mov_b32_dpp v32, v52 quad_perm:[2,3,0,1] row_mask:0xf bank_mask:0xf
	v_mov_b32_dpp v33, v53 quad_perm:[2,3,0,1] row_mask:0xf bank_mask:0xf
	v_mov_b32_dpp v34, v54 quad_perm:[2,3,0,1] row_mask:0xf bank_mask:0xf
	v_mov_b32_dpp v35, v55 quad_perm:[2,3,0,1] row_mask:0xf bank_mask:0xf
	;; [unrolled: 5-line block ×4, first 2 shown]
	v_mov_b32_dpp v0, v60 quad_perm:[3,0,1,2] row_mask:0xf bank_mask:0xf
	v_mov_b32_dpp v1, v61 quad_perm:[3,0,1,2] row_mask:0xf bank_mask:0xf
	;; [unrolled: 1-line block ×8, first 2 shown]
	s_waitcnt vmcnt(7)
	v_mov_b32_dpp v56, v106 quad_perm:[3,0,1,2] row_mask:0xf bank_mask:0xf
	v_mov_b32_dpp v57, v107 quad_perm:[3,0,1,2] row_mask:0xf bank_mask:0xf
	;; [unrolled: 1-line block ×4, first 2 shown]
	s_waitcnt vmcnt(6)
	v_mov_b32_dpp v52, v110 quad_perm:[1,2,3,0] row_mask:0xf bank_mask:0xf
	v_mov_b32_dpp v53, v111 quad_perm:[1,2,3,0] row_mask:0xf bank_mask:0xf
	;; [unrolled: 1-line block ×4, first 2 shown]
	s_clause 0x1
	scratch_store_b128 off, v[64:67], off offset:224
	scratch_store_b128 off, v[68:71], off offset:240
	; wave barrier
	s_waitcnt vmcnt(1)
	v_mov_b32_dpp v48, v44 quad_perm:[2,3,0,1] row_mask:0xf bank_mask:0xf
	v_mov_b32_dpp v49, v45 quad_perm:[2,3,0,1] row_mask:0xf bank_mask:0xf
	;; [unrolled: 1-line block ×4, first 2 shown]
	s_waitcnt vmcnt(0)
	v_mov_b32_dpp v44, v98 quad_perm:[3,0,1,2] row_mask:0xf bank_mask:0xf
	v_mov_b32_dpp v45, v99 quad_perm:[3,0,1,2] row_mask:0xf bank_mask:0xf
	;; [unrolled: 1-line block ×4, first 2 shown]
	s_cbranch_scc1 .LBB87_2
	s_branch .LBB87_4
.LBB87_3:
	v_dual_mov_b32 v73, 0 :: v_dual_mov_b32 v2, 0
	v_dual_mov_b32 v3, 0 :: v_dual_mov_b32 v18, 0
	v_dual_mov_b32 v19, 0 :: v_dual_mov_b32 v16, v72
	s_delay_alu instid0(VALU_DEP_2) | instskip(SKIP_2) | instid1(VALU_DEP_4)
	v_dual_mov_b32 v13, v73 :: v_dual_mov_b32 v14, v18
	v_dual_mov_b32 v9, v73 :: v_dual_mov_b32 v10, v18
	;; [unrolled: 1-line block ×3, first 2 shown]
	v_mov_b32_e32 v23, v19
	v_mov_b32_e32 v63, v19
	;; [unrolled: 1-line block ×11, first 2 shown]
	v_dual_mov_b32 v21, v73 :: v_dual_mov_b32 v22, v18
	v_dual_mov_b32 v61, v73 :: v_dual_mov_b32 v62, v18
	;; [unrolled: 1-line block ×11, first 2 shown]
	v_mov_b32_e32 v1, v73
	v_mov_b32_e32 v17, v73
	;; [unrolled: 1-line block ×5, first 2 shown]
.LBB87_4:
	s_load_b64 s[0:1], s[0:1], 0x0
	v_lshl_or_b32 v64, s15, 12, v72
	v_mov_b32_e32 v65, 0
	s_delay_alu instid0(VALU_DEP_1) | instskip(SKIP_1) | instid1(VALU_DEP_1)
	v_lshlrev_b64 v[64:65], 4, v[64:65]
	s_waitcnt lgkmcnt(0)
	v_add_co_u32 v64, vcc_lo, s0, v64
	s_delay_alu instid0(VALU_DEP_2)
	v_add_co_ci_u32_e32 v65, vcc_lo, s1, v65, vcc_lo
	s_clause 0xf
	global_store_b128 v[64:65], v[16:19], off
	global_store_b128 v[64:65], v[20:23], off offset:16
	global_store_b128 v[64:65], v[60:63], off offset:32
	;; [unrolled: 1-line block ×15, first 2 shown]
	s_endpgm
	.section	.rodata,"a",@progbits
	.p2align	6, 0x0
	.amdhsa_kernel _Z20warp_exchange_kernelILj256ELj16ELj32EN6common25StripedToBlockedShuffleOpEoEvPT3_j
		.amdhsa_group_segment_fixed_size 0
		.amdhsa_private_segment_fixed_size 528
		.amdhsa_kernarg_size 12
		.amdhsa_user_sgpr_count 15
		.amdhsa_user_sgpr_dispatch_ptr 0
		.amdhsa_user_sgpr_queue_ptr 0
		.amdhsa_user_sgpr_kernarg_segment_ptr 1
		.amdhsa_user_sgpr_dispatch_id 0
		.amdhsa_user_sgpr_private_segment_size 0
		.amdhsa_wavefront_size32 1
		.amdhsa_uses_dynamic_stack 0
		.amdhsa_enable_private_segment 1
		.amdhsa_system_sgpr_workgroup_id_x 1
		.amdhsa_system_sgpr_workgroup_id_y 0
		.amdhsa_system_sgpr_workgroup_id_z 0
		.amdhsa_system_sgpr_workgroup_info 0
		.amdhsa_system_vgpr_workitem_id 0
		.amdhsa_next_free_vgpr 114
		.amdhsa_next_free_sgpr 16
		.amdhsa_reserve_vcc 1
		.amdhsa_float_round_mode_32 0
		.amdhsa_float_round_mode_16_64 0
		.amdhsa_float_denorm_mode_32 3
		.amdhsa_float_denorm_mode_16_64 3
		.amdhsa_dx10_clamp 1
		.amdhsa_ieee_mode 1
		.amdhsa_fp16_overflow 0
		.amdhsa_workgroup_processor_mode 1
		.amdhsa_memory_ordered 1
		.amdhsa_forward_progress 0
		.amdhsa_shared_vgpr_count 0
		.amdhsa_exception_fp_ieee_invalid_op 0
		.amdhsa_exception_fp_denorm_src 0
		.amdhsa_exception_fp_ieee_div_zero 0
		.amdhsa_exception_fp_ieee_overflow 0
		.amdhsa_exception_fp_ieee_underflow 0
		.amdhsa_exception_fp_ieee_inexact 0
		.amdhsa_exception_int_div_zero 0
	.end_amdhsa_kernel
	.section	.text._Z20warp_exchange_kernelILj256ELj16ELj32EN6common25StripedToBlockedShuffleOpEoEvPT3_j,"axG",@progbits,_Z20warp_exchange_kernelILj256ELj16ELj32EN6common25StripedToBlockedShuffleOpEoEvPT3_j,comdat
.Lfunc_end87:
	.size	_Z20warp_exchange_kernelILj256ELj16ELj32EN6common25StripedToBlockedShuffleOpEoEvPT3_j, .Lfunc_end87-_Z20warp_exchange_kernelILj256ELj16ELj32EN6common25StripedToBlockedShuffleOpEoEvPT3_j
                                        ; -- End function
	.section	.AMDGPU.csdata,"",@progbits
; Kernel info:
; codeLenInByte = 3908
; NumSgprs: 18
; NumVgprs: 114
; ScratchSize: 528
; MemoryBound: 0
; FloatMode: 240
; IeeeMode: 1
; LDSByteSize: 0 bytes/workgroup (compile time only)
; SGPRBlocks: 2
; VGPRBlocks: 14
; NumSGPRsForWavesPerEU: 18
; NumVGPRsForWavesPerEU: 114
; Occupancy: 12
; WaveLimiterHint : 1
; COMPUTE_PGM_RSRC2:SCRATCH_EN: 1
; COMPUTE_PGM_RSRC2:USER_SGPR: 15
; COMPUTE_PGM_RSRC2:TRAP_HANDLER: 0
; COMPUTE_PGM_RSRC2:TGID_X_EN: 1
; COMPUTE_PGM_RSRC2:TGID_Y_EN: 0
; COMPUTE_PGM_RSRC2:TGID_Z_EN: 0
; COMPUTE_PGM_RSRC2:TIDIG_COMP_CNT: 0
	.section	.text._Z20warp_exchange_kernelILj256ELj1ELj16E18ScatterToStripedOpoEvPT3_j,"axG",@progbits,_Z20warp_exchange_kernelILj256ELj1ELj16E18ScatterToStripedOpoEvPT3_j,comdat
	.protected	_Z20warp_exchange_kernelILj256ELj1ELj16E18ScatterToStripedOpoEvPT3_j ; -- Begin function _Z20warp_exchange_kernelILj256ELj1ELj16E18ScatterToStripedOpoEvPT3_j
	.globl	_Z20warp_exchange_kernelILj256ELj1ELj16E18ScatterToStripedOpoEvPT3_j
	.p2align	8
	.type	_Z20warp_exchange_kernelILj256ELj1ELj16E18ScatterToStripedOpoEvPT3_j,@function
_Z20warp_exchange_kernelILj256ELj1ELj16E18ScatterToStripedOpoEvPT3_j: ; @_Z20warp_exchange_kernelILj256ELj1ELj16E18ScatterToStripedOpoEvPT3_j
; %bb.0:
	s_load_b32 s2, s[0:1], 0x8
	v_mov_b32_e32 v1, 0
	s_waitcnt lgkmcnt(0)
	s_cmp_eq_u32 s2, 0
	s_cbranch_scc1 .LBB88_3
; %bb.1:
	v_not_b32_e32 v2, v0
	v_lshlrev_b32_e32 v3, 4, v0
	v_mbcnt_lo_u32_b32 v4, -1, 0
	s_delay_alu instid0(VALU_DEP_3) | instskip(NEXT) | instid1(VALU_DEP_3)
	v_and_b32_e32 v2, 15, v2
	v_and_b32_e32 v6, 0xf00, v3
	s_delay_alu instid0(VALU_DEP_3) | instskip(SKIP_2) | instid1(VALU_DEP_4)
	v_and_b32_e32 v7, 15, v4
	v_mov_b32_e32 v3, 0
	v_mov_b32_e32 v4, 0
	v_lshl_or_b32 v5, v2, 4, v6
	v_mov_b32_e32 v2, v1
	v_mov_b32_e32 v1, v0
	v_lshl_or_b32 v6, v7, 4, v6
.LBB88_2:                               ; =>This Inner Loop Header: Depth=1
	s_waitcnt lgkmcnt(0)
	ds_store_b128 v5, v[1:4]
	; wave barrier
	ds_load_b128 v[1:4], v6
	s_add_i32 s2, s2, -1
	s_delay_alu instid0(SALU_CYCLE_1)
	s_cmp_lg_u32 s2, 0
	; wave barrier
	s_cbranch_scc1 .LBB88_2
	s_branch .LBB88_4
.LBB88_3:
	s_delay_alu instid0(VALU_DEP_1)
	v_dual_mov_b32 v3, 0 :: v_dual_mov_b32 v2, v1
	v_dual_mov_b32 v4, 0 :: v_dual_mov_b32 v1, v0
.LBB88_4:
	s_load_b64 s[0:1], s[0:1], 0x0
	v_lshl_or_b32 v5, s15, 8, v0
	v_mov_b32_e32 v6, 0
	s_delay_alu instid0(VALU_DEP_1) | instskip(SKIP_1) | instid1(VALU_DEP_1)
	v_lshlrev_b64 v[5:6], 4, v[5:6]
	s_waitcnt lgkmcnt(0)
	v_add_co_u32 v5, vcc_lo, s0, v5
	s_delay_alu instid0(VALU_DEP_2)
	v_add_co_ci_u32_e32 v6, vcc_lo, s1, v6, vcc_lo
	global_store_b128 v[5:6], v[1:4], off
	s_nop 0
	s_sendmsg sendmsg(MSG_DEALLOC_VGPRS)
	s_endpgm
	.section	.rodata,"a",@progbits
	.p2align	6, 0x0
	.amdhsa_kernel _Z20warp_exchange_kernelILj256ELj1ELj16E18ScatterToStripedOpoEvPT3_j
		.amdhsa_group_segment_fixed_size 4096
		.amdhsa_private_segment_fixed_size 0
		.amdhsa_kernarg_size 12
		.amdhsa_user_sgpr_count 15
		.amdhsa_user_sgpr_dispatch_ptr 0
		.amdhsa_user_sgpr_queue_ptr 0
		.amdhsa_user_sgpr_kernarg_segment_ptr 1
		.amdhsa_user_sgpr_dispatch_id 0
		.amdhsa_user_sgpr_private_segment_size 0
		.amdhsa_wavefront_size32 1
		.amdhsa_uses_dynamic_stack 0
		.amdhsa_enable_private_segment 0
		.amdhsa_system_sgpr_workgroup_id_x 1
		.amdhsa_system_sgpr_workgroup_id_y 0
		.amdhsa_system_sgpr_workgroup_id_z 0
		.amdhsa_system_sgpr_workgroup_info 0
		.amdhsa_system_vgpr_workitem_id 0
		.amdhsa_next_free_vgpr 8
		.amdhsa_next_free_sgpr 16
		.amdhsa_reserve_vcc 1
		.amdhsa_float_round_mode_32 0
		.amdhsa_float_round_mode_16_64 0
		.amdhsa_float_denorm_mode_32 3
		.amdhsa_float_denorm_mode_16_64 3
		.amdhsa_dx10_clamp 1
		.amdhsa_ieee_mode 1
		.amdhsa_fp16_overflow 0
		.amdhsa_workgroup_processor_mode 1
		.amdhsa_memory_ordered 1
		.amdhsa_forward_progress 0
		.amdhsa_shared_vgpr_count 0
		.amdhsa_exception_fp_ieee_invalid_op 0
		.amdhsa_exception_fp_denorm_src 0
		.amdhsa_exception_fp_ieee_div_zero 0
		.amdhsa_exception_fp_ieee_overflow 0
		.amdhsa_exception_fp_ieee_underflow 0
		.amdhsa_exception_fp_ieee_inexact 0
		.amdhsa_exception_int_div_zero 0
	.end_amdhsa_kernel
	.section	.text._Z20warp_exchange_kernelILj256ELj1ELj16E18ScatterToStripedOpoEvPT3_j,"axG",@progbits,_Z20warp_exchange_kernelILj256ELj1ELj16E18ScatterToStripedOpoEvPT3_j,comdat
.Lfunc_end88:
	.size	_Z20warp_exchange_kernelILj256ELj1ELj16E18ScatterToStripedOpoEvPT3_j, .Lfunc_end88-_Z20warp_exchange_kernelILj256ELj1ELj16E18ScatterToStripedOpoEvPT3_j
                                        ; -- End function
	.section	.AMDGPU.csdata,"",@progbits
; Kernel info:
; codeLenInByte = 228
; NumSgprs: 18
; NumVgprs: 8
; ScratchSize: 0
; MemoryBound: 0
; FloatMode: 240
; IeeeMode: 1
; LDSByteSize: 4096 bytes/workgroup (compile time only)
; SGPRBlocks: 2
; VGPRBlocks: 0
; NumSGPRsForWavesPerEU: 18
; NumVGPRsForWavesPerEU: 8
; Occupancy: 16
; WaveLimiterHint : 0
; COMPUTE_PGM_RSRC2:SCRATCH_EN: 0
; COMPUTE_PGM_RSRC2:USER_SGPR: 15
; COMPUTE_PGM_RSRC2:TRAP_HANDLER: 0
; COMPUTE_PGM_RSRC2:TGID_X_EN: 1
; COMPUTE_PGM_RSRC2:TGID_Y_EN: 0
; COMPUTE_PGM_RSRC2:TGID_Z_EN: 0
; COMPUTE_PGM_RSRC2:TIDIG_COMP_CNT: 0
	.section	.text._Z20warp_exchange_kernelILj256ELj1ELj32E18ScatterToStripedOpoEvPT3_j,"axG",@progbits,_Z20warp_exchange_kernelILj256ELj1ELj32E18ScatterToStripedOpoEvPT3_j,comdat
	.protected	_Z20warp_exchange_kernelILj256ELj1ELj32E18ScatterToStripedOpoEvPT3_j ; -- Begin function _Z20warp_exchange_kernelILj256ELj1ELj32E18ScatterToStripedOpoEvPT3_j
	.globl	_Z20warp_exchange_kernelILj256ELj1ELj32E18ScatterToStripedOpoEvPT3_j
	.p2align	8
	.type	_Z20warp_exchange_kernelILj256ELj1ELj32E18ScatterToStripedOpoEvPT3_j,@function
_Z20warp_exchange_kernelILj256ELj1ELj32E18ScatterToStripedOpoEvPT3_j: ; @_Z20warp_exchange_kernelILj256ELj1ELj32E18ScatterToStripedOpoEvPT3_j
; %bb.0:
	s_load_b32 s2, s[0:1], 0x8
	v_mov_b32_e32 v1, 0
	s_waitcnt lgkmcnt(0)
	s_cmp_eq_u32 s2, 0
	s_cbranch_scc1 .LBB89_3
; %bb.1:
	v_not_b32_e32 v2, v0
	v_lshlrev_b32_e32 v3, 4, v0
	v_mbcnt_lo_u32_b32 v7, -1, 0
	s_delay_alu instid0(VALU_DEP_3) | instskip(NEXT) | instid1(VALU_DEP_3)
	v_and_b32_e32 v2, 31, v2
	v_dual_mov_b32 v3, 0 :: v_dual_and_b32 v6, 0xe00, v3
	v_mov_b32_e32 v4, 0
	s_delay_alu instid0(VALU_DEP_2)
	v_lshl_or_b32 v5, v2, 4, v6
	v_mov_b32_e32 v2, v1
	v_mov_b32_e32 v1, v0
	v_lshl_or_b32 v6, v7, 4, v6
.LBB89_2:                               ; =>This Inner Loop Header: Depth=1
	s_waitcnt lgkmcnt(0)
	ds_store_b128 v5, v[1:4]
	; wave barrier
	ds_load_b128 v[1:4], v6
	s_add_i32 s2, s2, -1
	s_delay_alu instid0(SALU_CYCLE_1)
	s_cmp_lg_u32 s2, 0
	; wave barrier
	s_cbranch_scc1 .LBB89_2
	s_branch .LBB89_4
.LBB89_3:
	s_delay_alu instid0(VALU_DEP_1)
	v_dual_mov_b32 v3, 0 :: v_dual_mov_b32 v2, v1
	v_dual_mov_b32 v4, 0 :: v_dual_mov_b32 v1, v0
.LBB89_4:
	s_load_b64 s[0:1], s[0:1], 0x0
	v_lshl_or_b32 v5, s15, 8, v0
	v_mov_b32_e32 v6, 0
	s_delay_alu instid0(VALU_DEP_1) | instskip(SKIP_1) | instid1(VALU_DEP_1)
	v_lshlrev_b64 v[5:6], 4, v[5:6]
	s_waitcnt lgkmcnt(0)
	v_add_co_u32 v5, vcc_lo, s0, v5
	s_delay_alu instid0(VALU_DEP_2)
	v_add_co_ci_u32_e32 v6, vcc_lo, s1, v6, vcc_lo
	global_store_b128 v[5:6], v[1:4], off
	s_nop 0
	s_sendmsg sendmsg(MSG_DEALLOC_VGPRS)
	s_endpgm
	.section	.rodata,"a",@progbits
	.p2align	6, 0x0
	.amdhsa_kernel _Z20warp_exchange_kernelILj256ELj1ELj32E18ScatterToStripedOpoEvPT3_j
		.amdhsa_group_segment_fixed_size 4096
		.amdhsa_private_segment_fixed_size 0
		.amdhsa_kernarg_size 12
		.amdhsa_user_sgpr_count 15
		.amdhsa_user_sgpr_dispatch_ptr 0
		.amdhsa_user_sgpr_queue_ptr 0
		.amdhsa_user_sgpr_kernarg_segment_ptr 1
		.amdhsa_user_sgpr_dispatch_id 0
		.amdhsa_user_sgpr_private_segment_size 0
		.amdhsa_wavefront_size32 1
		.amdhsa_uses_dynamic_stack 0
		.amdhsa_enable_private_segment 0
		.amdhsa_system_sgpr_workgroup_id_x 1
		.amdhsa_system_sgpr_workgroup_id_y 0
		.amdhsa_system_sgpr_workgroup_id_z 0
		.amdhsa_system_sgpr_workgroup_info 0
		.amdhsa_system_vgpr_workitem_id 0
		.amdhsa_next_free_vgpr 8
		.amdhsa_next_free_sgpr 16
		.amdhsa_reserve_vcc 1
		.amdhsa_float_round_mode_32 0
		.amdhsa_float_round_mode_16_64 0
		.amdhsa_float_denorm_mode_32 3
		.amdhsa_float_denorm_mode_16_64 3
		.amdhsa_dx10_clamp 1
		.amdhsa_ieee_mode 1
		.amdhsa_fp16_overflow 0
		.amdhsa_workgroup_processor_mode 1
		.amdhsa_memory_ordered 1
		.amdhsa_forward_progress 0
		.amdhsa_shared_vgpr_count 0
		.amdhsa_exception_fp_ieee_invalid_op 0
		.amdhsa_exception_fp_denorm_src 0
		.amdhsa_exception_fp_ieee_div_zero 0
		.amdhsa_exception_fp_ieee_overflow 0
		.amdhsa_exception_fp_ieee_underflow 0
		.amdhsa_exception_fp_ieee_inexact 0
		.amdhsa_exception_int_div_zero 0
	.end_amdhsa_kernel
	.section	.text._Z20warp_exchange_kernelILj256ELj1ELj32E18ScatterToStripedOpoEvPT3_j,"axG",@progbits,_Z20warp_exchange_kernelILj256ELj1ELj32E18ScatterToStripedOpoEvPT3_j,comdat
.Lfunc_end89:
	.size	_Z20warp_exchange_kernelILj256ELj1ELj32E18ScatterToStripedOpoEvPT3_j, .Lfunc_end89-_Z20warp_exchange_kernelILj256ELj1ELj32E18ScatterToStripedOpoEvPT3_j
                                        ; -- End function
	.section	.AMDGPU.csdata,"",@progbits
; Kernel info:
; codeLenInByte = 224
; NumSgprs: 18
; NumVgprs: 8
; ScratchSize: 0
; MemoryBound: 0
; FloatMode: 240
; IeeeMode: 1
; LDSByteSize: 4096 bytes/workgroup (compile time only)
; SGPRBlocks: 2
; VGPRBlocks: 0
; NumSGPRsForWavesPerEU: 18
; NumVGPRsForWavesPerEU: 8
; Occupancy: 16
; WaveLimiterHint : 0
; COMPUTE_PGM_RSRC2:SCRATCH_EN: 0
; COMPUTE_PGM_RSRC2:USER_SGPR: 15
; COMPUTE_PGM_RSRC2:TRAP_HANDLER: 0
; COMPUTE_PGM_RSRC2:TGID_X_EN: 1
; COMPUTE_PGM_RSRC2:TGID_Y_EN: 0
; COMPUTE_PGM_RSRC2:TGID_Z_EN: 0
; COMPUTE_PGM_RSRC2:TIDIG_COMP_CNT: 0
	.section	.text._Z20warp_exchange_kernelILj256ELj4ELj16E18ScatterToStripedOpoEvPT3_j,"axG",@progbits,_Z20warp_exchange_kernelILj256ELj4ELj16E18ScatterToStripedOpoEvPT3_j,comdat
	.protected	_Z20warp_exchange_kernelILj256ELj4ELj16E18ScatterToStripedOpoEvPT3_j ; -- Begin function _Z20warp_exchange_kernelILj256ELj4ELj16E18ScatterToStripedOpoEvPT3_j
	.globl	_Z20warp_exchange_kernelILj256ELj4ELj16E18ScatterToStripedOpoEvPT3_j
	.p2align	8
	.type	_Z20warp_exchange_kernelILj256ELj4ELj16E18ScatterToStripedOpoEvPT3_j,@function
_Z20warp_exchange_kernelILj256ELj4ELj16E18ScatterToStripedOpoEvPT3_j: ; @_Z20warp_exchange_kernelILj256ELj4ELj16E18ScatterToStripedOpoEvPT3_j
; %bb.0:
	s_load_b32 s2, s[0:1], 0x8
	v_lshlrev_b32_e32 v17, 2, v0
	s_delay_alu instid0(VALU_DEP_1)
	v_or_b32_e32 v9, 1, v17
	v_or_b32_e32 v5, 2, v17
	;; [unrolled: 1-line block ×3, first 2 shown]
	s_waitcnt lgkmcnt(0)
	s_cmp_eq_u32 s2, 0
	s_cbranch_scc1 .LBB90_3
; %bb.1:
	v_dual_mov_b32 v2, 0 :: v_dual_and_b32 v7, 60, v17
	v_dual_mov_b32 v15, 0 :: v_dual_lshlrev_b32 v0, 6, v0
	v_mbcnt_lo_u32_b32 v8, -1, 0
	v_dual_mov_b32 v16, 0 :: v_dual_mov_b32 v3, 0
	s_delay_alu instid0(VALU_DEP_4)
	v_mov_b32_e32 v18, v2
	v_dual_mov_b32 v4, 0 :: v_dual_mov_b32 v13, v17
	v_and_b32_e32 v12, 0x3c00, v0
	v_and_b32_e32 v8, 15, v8
	v_xor_b32_e32 v11, 60, v7
	v_mov_b32_e32 v6, v2
	v_mov_b32_e32 v10, v2
	v_lshl_or_b32 v19, v7, 4, v12
	v_lshl_or_b32 v20, v8, 4, v12
	v_dual_mov_b32 v8, v4 :: v_dual_mov_b32 v7, v3
	v_lshl_or_b32 v0, v11, 4, v12
	v_dual_mov_b32 v12, v4 :: v_dual_mov_b32 v11, v3
	v_mov_b32_e32 v14, v18
	.p2align	6
.LBB90_2:                               ; =>This Inner Loop Header: Depth=1
	s_waitcnt lgkmcnt(3)
	ds_store_b128 v0, v[13:16]
	s_waitcnt lgkmcnt(3)
	ds_store_b128 v19, v[9:12] offset:16
	s_waitcnt lgkmcnt(3)
	ds_store_b128 v0, v[5:8] offset:32
	;; [unrolled: 2-line block ×3, first 2 shown]
	; wave barrier
	ds_load_b128 v[13:16], v20
	ds_load_b128 v[9:12], v20 offset:256
	ds_load_b128 v[5:8], v20 offset:512
	ds_load_b128 v[1:4], v20 offset:768
	s_add_i32 s2, s2, -1
	s_delay_alu instid0(SALU_CYCLE_1)
	s_cmp_lg_u32 s2, 0
	; wave barrier
	s_cbranch_scc1 .LBB90_2
	s_branch .LBB90_4
.LBB90_3:
	v_dual_mov_b32 v18, 0 :: v_dual_mov_b32 v15, 0
	v_dual_mov_b32 v16, 0 :: v_dual_mov_b32 v3, 0
	;; [unrolled: 1-line block ×3, first 2 shown]
	s_delay_alu instid0(VALU_DEP_3)
	v_dual_mov_b32 v10, v18 :: v_dual_mov_b32 v11, v15
	v_dual_mov_b32 v6, v18 :: v_dual_mov_b32 v7, v15
	v_mov_b32_e32 v2, v18
	v_mov_b32_e32 v14, v18
	;; [unrolled: 1-line block ×4, first 2 shown]
.LBB90_4:
	s_load_b64 s[0:1], s[0:1], 0x0
	v_lshl_or_b32 v17, s15, 10, v17
	v_mov_b32_e32 v18, 0
	s_delay_alu instid0(VALU_DEP_1) | instskip(SKIP_1) | instid1(VALU_DEP_1)
	v_lshlrev_b64 v[17:18], 4, v[17:18]
	s_waitcnt lgkmcnt(0)
	v_add_co_u32 v17, vcc_lo, s0, v17
	s_delay_alu instid0(VALU_DEP_2)
	v_add_co_ci_u32_e32 v18, vcc_lo, s1, v18, vcc_lo
	s_clause 0x3
	global_store_b128 v[17:18], v[13:16], off
	global_store_b128 v[17:18], v[9:12], off offset:16
	global_store_b128 v[17:18], v[5:8], off offset:32
	;; [unrolled: 1-line block ×3, first 2 shown]
	s_nop 0
	s_sendmsg sendmsg(MSG_DEALLOC_VGPRS)
	s_endpgm
	.section	.rodata,"a",@progbits
	.p2align	6, 0x0
	.amdhsa_kernel _Z20warp_exchange_kernelILj256ELj4ELj16E18ScatterToStripedOpoEvPT3_j
		.amdhsa_group_segment_fixed_size 16384
		.amdhsa_private_segment_fixed_size 0
		.amdhsa_kernarg_size 12
		.amdhsa_user_sgpr_count 15
		.amdhsa_user_sgpr_dispatch_ptr 0
		.amdhsa_user_sgpr_queue_ptr 0
		.amdhsa_user_sgpr_kernarg_segment_ptr 1
		.amdhsa_user_sgpr_dispatch_id 0
		.amdhsa_user_sgpr_private_segment_size 0
		.amdhsa_wavefront_size32 1
		.amdhsa_uses_dynamic_stack 0
		.amdhsa_enable_private_segment 0
		.amdhsa_system_sgpr_workgroup_id_x 1
		.amdhsa_system_sgpr_workgroup_id_y 0
		.amdhsa_system_sgpr_workgroup_id_z 0
		.amdhsa_system_sgpr_workgroup_info 0
		.amdhsa_system_vgpr_workitem_id 0
		.amdhsa_next_free_vgpr 21
		.amdhsa_next_free_sgpr 16
		.amdhsa_reserve_vcc 1
		.amdhsa_float_round_mode_32 0
		.amdhsa_float_round_mode_16_64 0
		.amdhsa_float_denorm_mode_32 3
		.amdhsa_float_denorm_mode_16_64 3
		.amdhsa_dx10_clamp 1
		.amdhsa_ieee_mode 1
		.amdhsa_fp16_overflow 0
		.amdhsa_workgroup_processor_mode 1
		.amdhsa_memory_ordered 1
		.amdhsa_forward_progress 0
		.amdhsa_shared_vgpr_count 0
		.amdhsa_exception_fp_ieee_invalid_op 0
		.amdhsa_exception_fp_denorm_src 0
		.amdhsa_exception_fp_ieee_div_zero 0
		.amdhsa_exception_fp_ieee_overflow 0
		.amdhsa_exception_fp_ieee_underflow 0
		.amdhsa_exception_fp_ieee_inexact 0
		.amdhsa_exception_int_div_zero 0
	.end_amdhsa_kernel
	.section	.text._Z20warp_exchange_kernelILj256ELj4ELj16E18ScatterToStripedOpoEvPT3_j,"axG",@progbits,_Z20warp_exchange_kernelILj256ELj4ELj16E18ScatterToStripedOpoEvPT3_j,comdat
.Lfunc_end90:
	.size	_Z20warp_exchange_kernelILj256ELj4ELj16E18ScatterToStripedOpoEvPT3_j, .Lfunc_end90-_Z20warp_exchange_kernelILj256ELj4ELj16E18ScatterToStripedOpoEvPT3_j
                                        ; -- End function
	.section	.AMDGPU.csdata,"",@progbits
; Kernel info:
; codeLenInByte = 416
; NumSgprs: 18
; NumVgprs: 21
; ScratchSize: 0
; MemoryBound: 0
; FloatMode: 240
; IeeeMode: 1
; LDSByteSize: 16384 bytes/workgroup (compile time only)
; SGPRBlocks: 2
; VGPRBlocks: 2
; NumSGPRsForWavesPerEU: 18
; NumVGPRsForWavesPerEU: 21
; Occupancy: 16
; WaveLimiterHint : 0
; COMPUTE_PGM_RSRC2:SCRATCH_EN: 0
; COMPUTE_PGM_RSRC2:USER_SGPR: 15
; COMPUTE_PGM_RSRC2:TRAP_HANDLER: 0
; COMPUTE_PGM_RSRC2:TGID_X_EN: 1
; COMPUTE_PGM_RSRC2:TGID_Y_EN: 0
; COMPUTE_PGM_RSRC2:TGID_Z_EN: 0
; COMPUTE_PGM_RSRC2:TIDIG_COMP_CNT: 0
	.section	.text._Z20warp_exchange_kernelILj256ELj4ELj32E18ScatterToStripedOpoEvPT3_j,"axG",@progbits,_Z20warp_exchange_kernelILj256ELj4ELj32E18ScatterToStripedOpoEvPT3_j,comdat
	.protected	_Z20warp_exchange_kernelILj256ELj4ELj32E18ScatterToStripedOpoEvPT3_j ; -- Begin function _Z20warp_exchange_kernelILj256ELj4ELj32E18ScatterToStripedOpoEvPT3_j
	.globl	_Z20warp_exchange_kernelILj256ELj4ELj32E18ScatterToStripedOpoEvPT3_j
	.p2align	8
	.type	_Z20warp_exchange_kernelILj256ELj4ELj32E18ScatterToStripedOpoEvPT3_j,@function
_Z20warp_exchange_kernelILj256ELj4ELj32E18ScatterToStripedOpoEvPT3_j: ; @_Z20warp_exchange_kernelILj256ELj4ELj32E18ScatterToStripedOpoEvPT3_j
; %bb.0:
	s_load_b32 s2, s[0:1], 0x8
	v_lshlrev_b32_e32 v17, 2, v0
	s_delay_alu instid0(VALU_DEP_1)
	v_or_b32_e32 v9, 1, v17
	v_or_b32_e32 v5, 2, v17
	;; [unrolled: 1-line block ×3, first 2 shown]
	s_waitcnt lgkmcnt(0)
	s_cmp_eq_u32 s2, 0
	s_cbranch_scc1 .LBB91_3
; %bb.1:
	v_dual_mov_b32 v2, 0 :: v_dual_and_b32 v7, 0x7c, v17
	v_dual_mov_b32 v15, 0 :: v_dual_lshlrev_b32 v0, 6, v0
	v_dual_mov_b32 v16, 0 :: v_dual_mov_b32 v3, 0
	s_delay_alu instid0(VALU_DEP_2) | instskip(NEXT) | instid1(VALU_DEP_4)
	v_dual_mov_b32 v4, 0 :: v_dual_and_b32 v11, 0x3800, v0
	v_xor_b32_e32 v8, 0x7c, v7
	v_mbcnt_lo_u32_b32 v12, -1, 0
	v_mov_b32_e32 v18, v2
	v_mov_b32_e32 v13, v17
	v_lshl_or_b32 v19, v7, 4, v11
	v_lshl_or_b32 v0, v8, 4, v11
	;; [unrolled: 1-line block ×3, first 2 shown]
	v_mov_b32_e32 v8, v4
	v_mov_b32_e32 v12, v4
	v_dual_mov_b32 v6, v2 :: v_dual_mov_b32 v7, v3
	v_dual_mov_b32 v10, v2 :: v_dual_mov_b32 v11, v3
	v_mov_b32_e32 v14, v18
	.p2align	6
.LBB91_2:                               ; =>This Inner Loop Header: Depth=1
	s_waitcnt lgkmcnt(3)
	ds_store_b128 v0, v[13:16]
	s_waitcnt lgkmcnt(3)
	ds_store_b128 v19, v[9:12] offset:16
	s_waitcnt lgkmcnt(3)
	ds_store_b128 v0, v[5:8] offset:32
	;; [unrolled: 2-line block ×3, first 2 shown]
	; wave barrier
	ds_load_b128 v[13:16], v20
	ds_load_b128 v[9:12], v20 offset:512
	ds_load_b128 v[5:8], v20 offset:1024
	;; [unrolled: 1-line block ×3, first 2 shown]
	s_add_i32 s2, s2, -1
	s_delay_alu instid0(SALU_CYCLE_1)
	s_cmp_lg_u32 s2, 0
	; wave barrier
	s_cbranch_scc1 .LBB91_2
	s_branch .LBB91_4
.LBB91_3:
	v_dual_mov_b32 v18, 0 :: v_dual_mov_b32 v15, 0
	v_dual_mov_b32 v16, 0 :: v_dual_mov_b32 v3, 0
	v_dual_mov_b32 v4, 0 :: v_dual_mov_b32 v13, v17
	s_delay_alu instid0(VALU_DEP_3)
	v_dual_mov_b32 v10, v18 :: v_dual_mov_b32 v11, v15
	v_dual_mov_b32 v6, v18 :: v_dual_mov_b32 v7, v15
	v_mov_b32_e32 v2, v18
	v_mov_b32_e32 v14, v18
	;; [unrolled: 1-line block ×4, first 2 shown]
.LBB91_4:
	s_load_b64 s[0:1], s[0:1], 0x0
	v_lshl_or_b32 v17, s15, 10, v17
	v_mov_b32_e32 v18, 0
	s_delay_alu instid0(VALU_DEP_1) | instskip(SKIP_1) | instid1(VALU_DEP_1)
	v_lshlrev_b64 v[17:18], 4, v[17:18]
	s_waitcnt lgkmcnt(0)
	v_add_co_u32 v17, vcc_lo, s0, v17
	s_delay_alu instid0(VALU_DEP_2)
	v_add_co_ci_u32_e32 v18, vcc_lo, s1, v18, vcc_lo
	s_clause 0x3
	global_store_b128 v[17:18], v[13:16], off
	global_store_b128 v[17:18], v[9:12], off offset:16
	global_store_b128 v[17:18], v[5:8], off offset:32
	global_store_b128 v[17:18], v[1:4], off offset:48
	s_nop 0
	s_sendmsg sendmsg(MSG_DEALLOC_VGPRS)
	s_endpgm
	.section	.rodata,"a",@progbits
	.p2align	6, 0x0
	.amdhsa_kernel _Z20warp_exchange_kernelILj256ELj4ELj32E18ScatterToStripedOpoEvPT3_j
		.amdhsa_group_segment_fixed_size 16384
		.amdhsa_private_segment_fixed_size 0
		.amdhsa_kernarg_size 12
		.amdhsa_user_sgpr_count 15
		.amdhsa_user_sgpr_dispatch_ptr 0
		.amdhsa_user_sgpr_queue_ptr 0
		.amdhsa_user_sgpr_kernarg_segment_ptr 1
		.amdhsa_user_sgpr_dispatch_id 0
		.amdhsa_user_sgpr_private_segment_size 0
		.amdhsa_wavefront_size32 1
		.amdhsa_uses_dynamic_stack 0
		.amdhsa_enable_private_segment 0
		.amdhsa_system_sgpr_workgroup_id_x 1
		.amdhsa_system_sgpr_workgroup_id_y 0
		.amdhsa_system_sgpr_workgroup_id_z 0
		.amdhsa_system_sgpr_workgroup_info 0
		.amdhsa_system_vgpr_workitem_id 0
		.amdhsa_next_free_vgpr 21
		.amdhsa_next_free_sgpr 16
		.amdhsa_reserve_vcc 1
		.amdhsa_float_round_mode_32 0
		.amdhsa_float_round_mode_16_64 0
		.amdhsa_float_denorm_mode_32 3
		.amdhsa_float_denorm_mode_16_64 3
		.amdhsa_dx10_clamp 1
		.amdhsa_ieee_mode 1
		.amdhsa_fp16_overflow 0
		.amdhsa_workgroup_processor_mode 1
		.amdhsa_memory_ordered 1
		.amdhsa_forward_progress 0
		.amdhsa_shared_vgpr_count 0
		.amdhsa_exception_fp_ieee_invalid_op 0
		.amdhsa_exception_fp_denorm_src 0
		.amdhsa_exception_fp_ieee_div_zero 0
		.amdhsa_exception_fp_ieee_overflow 0
		.amdhsa_exception_fp_ieee_underflow 0
		.amdhsa_exception_fp_ieee_inexact 0
		.amdhsa_exception_int_div_zero 0
	.end_amdhsa_kernel
	.section	.text._Z20warp_exchange_kernelILj256ELj4ELj32E18ScatterToStripedOpoEvPT3_j,"axG",@progbits,_Z20warp_exchange_kernelILj256ELj4ELj32E18ScatterToStripedOpoEvPT3_j,comdat
.Lfunc_end91:
	.size	_Z20warp_exchange_kernelILj256ELj4ELj32E18ScatterToStripedOpoEvPT3_j, .Lfunc_end91-_Z20warp_exchange_kernelILj256ELj4ELj32E18ScatterToStripedOpoEvPT3_j
                                        ; -- End function
	.section	.AMDGPU.csdata,"",@progbits
; Kernel info:
; codeLenInByte = 420
; NumSgprs: 18
; NumVgprs: 21
; ScratchSize: 0
; MemoryBound: 0
; FloatMode: 240
; IeeeMode: 1
; LDSByteSize: 16384 bytes/workgroup (compile time only)
; SGPRBlocks: 2
; VGPRBlocks: 2
; NumSGPRsForWavesPerEU: 18
; NumVGPRsForWavesPerEU: 21
; Occupancy: 16
; WaveLimiterHint : 0
; COMPUTE_PGM_RSRC2:SCRATCH_EN: 0
; COMPUTE_PGM_RSRC2:USER_SGPR: 15
; COMPUTE_PGM_RSRC2:TRAP_HANDLER: 0
; COMPUTE_PGM_RSRC2:TGID_X_EN: 1
; COMPUTE_PGM_RSRC2:TGID_Y_EN: 0
; COMPUTE_PGM_RSRC2:TGID_Z_EN: 0
; COMPUTE_PGM_RSRC2:TIDIG_COMP_CNT: 0
	.section	.text._Z20warp_exchange_kernelILj256ELj16ELj16E18ScatterToStripedOpoEvPT3_j,"axG",@progbits,_Z20warp_exchange_kernelILj256ELj16ELj16E18ScatterToStripedOpoEvPT3_j,comdat
	.protected	_Z20warp_exchange_kernelILj256ELj16ELj16E18ScatterToStripedOpoEvPT3_j ; -- Begin function _Z20warp_exchange_kernelILj256ELj16ELj16E18ScatterToStripedOpoEvPT3_j
	.globl	_Z20warp_exchange_kernelILj256ELj16ELj16E18ScatterToStripedOpoEvPT3_j
	.p2align	8
	.type	_Z20warp_exchange_kernelILj256ELj16ELj16E18ScatterToStripedOpoEvPT3_j,@function
_Z20warp_exchange_kernelILj256ELj16ELj16E18ScatterToStripedOpoEvPT3_j: ; @_Z20warp_exchange_kernelILj256ELj16ELj16E18ScatterToStripedOpoEvPT3_j
; %bb.0:
	s_load_b32 s2, s[0:1], 0x8
	v_lshlrev_b32_e32 v65, 4, v0
	s_delay_alu instid0(VALU_DEP_1)
	v_or_b32_e32 v57, 1, v65
	v_or_b32_e32 v53, 2, v65
	;; [unrolled: 1-line block ×15, first 2 shown]
	s_waitcnt lgkmcnt(0)
	s_cmp_eq_u32 s2, 0
	s_cbranch_scc1 .LBB92_3
; %bb.1:
	v_lshlrev_b32_e32 v0, 8, v0
	v_dual_mov_b32 v2, 0 :: v_dual_mov_b32 v63, 0
	v_dual_mov_b32 v64, 0 :: v_dual_mov_b32 v59, 0
	s_delay_alu instid0(VALU_DEP_3) | instskip(SKIP_1) | instid1(VALU_DEP_3)
	v_dual_mov_b32 v60, 0 :: v_dual_and_b32 v7, 0xf000, v0
	v_mbcnt_lo_u32_b32 v3, -1, 0
	v_dual_mov_b32 v15, v59 :: v_dual_and_b32 v4, 0xf0, v65
	v_mov_b32_e32 v66, v2
	v_dual_mov_b32 v6, v2 :: v_dual_mov_b32 v61, v65
	s_delay_alu instid0(VALU_DEP_4) | instskip(NEXT) | instid1(VALU_DEP_4)
	v_and_b32_e32 v0, 15, v3
	v_xor_b32_e32 v3, 0xf0, v4
	v_dual_mov_b32 v10, v2 :: v_dual_mov_b32 v55, v59
	v_dual_mov_b32 v14, v2 :: v_dual_mov_b32 v51, v59
	;; [unrolled: 1-line block ×10, first 2 shown]
	v_mov_b32_e32 v50, v2
	v_lshl_or_b32 v67, v3, 4, v7
	v_lshl_or_b32 v68, v4, 4, v7
	v_mov_b32_e32 v19, v59
	v_mov_b32_e32 v3, v59
	v_lshl_or_b32 v0, v0, 4, v7
	v_dual_mov_b32 v7, v59 :: v_dual_mov_b32 v54, v2
	v_mov_b32_e32 v58, v2
	v_mov_b32_e32 v62, v66
	;; [unrolled: 1-line block ×16, first 2 shown]
.LBB92_2:                               ; =>This Inner Loop Header: Depth=1
	s_waitcnt lgkmcnt(15)
	ds_store_b128 v67, v[61:64]
	s_waitcnt lgkmcnt(15)
	ds_store_b128 v68, v[57:60] offset:16
	s_waitcnt lgkmcnt(15)
	ds_store_b128 v67, v[53:56] offset:32
	s_waitcnt lgkmcnt(15)
	ds_store_b128 v68, v[49:52] offset:48
	s_waitcnt lgkmcnt(15)
	ds_store_b128 v67, v[45:48] offset:64
	s_waitcnt lgkmcnt(15)
	ds_store_b128 v68, v[41:44] offset:80
	s_waitcnt lgkmcnt(15)
	ds_store_b128 v67, v[37:40] offset:96
	s_waitcnt lgkmcnt(15)
	ds_store_b128 v68, v[33:36] offset:112
	s_waitcnt lgkmcnt(15)
	ds_store_b128 v67, v[29:32] offset:128
	s_waitcnt lgkmcnt(15)
	ds_store_b128 v68, v[25:28] offset:144
	s_waitcnt lgkmcnt(15)
	ds_store_b128 v67, v[21:24] offset:160
	s_waitcnt lgkmcnt(15)
	ds_store_b128 v68, v[17:20] offset:176
	s_waitcnt lgkmcnt(15)
	ds_store_b128 v67, v[13:16] offset:192
	s_waitcnt lgkmcnt(15)
	ds_store_b128 v68, v[9:12] offset:208
	s_waitcnt lgkmcnt(15)
	ds_store_b128 v67, v[5:8] offset:224
	s_waitcnt lgkmcnt(15)
	ds_store_b128 v68, v[1:4] offset:240
	; wave barrier
	ds_load_b128 v[61:64], v0
	ds_load_b128 v[57:60], v0 offset:256
	ds_load_b128 v[53:56], v0 offset:512
	;; [unrolled: 1-line block ×15, first 2 shown]
	s_add_i32 s2, s2, -1
	s_delay_alu instid0(SALU_CYCLE_1)
	s_cmp_lg_u32 s2, 0
	; wave barrier
	s_cbranch_scc1 .LBB92_2
	s_branch .LBB92_4
.LBB92_3:
	v_dual_mov_b32 v66, 0 :: v_dual_mov_b32 v3, 0
	v_dual_mov_b32 v4, 0 :: v_dual_mov_b32 v7, 0
	;; [unrolled: 1-line block ×3, first 2 shown]
	s_delay_alu instid0(VALU_DEP_3) | instskip(SKIP_2) | instid1(VALU_DEP_4)
	v_mov_b32_e32 v58, v66
	v_mov_b32_e32 v54, v66
	;; [unrolled: 1-line block ×5, first 2 shown]
	v_dual_mov_b32 v20, v8 :: v_dual_mov_b32 v19, v7
	v_mov_b32_e32 v24, v8
	v_mov_b32_e32 v28, v8
	;; [unrolled: 1-line block ×11, first 2 shown]
	v_dual_mov_b32 v46, v66 :: v_dual_mov_b32 v23, v7
	v_dual_mov_b32 v42, v66 :: v_dual_mov_b32 v27, v7
	;; [unrolled: 1-line block ×13, first 2 shown]
.LBB92_4:
	s_load_b64 s[0:1], s[0:1], 0x0
	v_lshl_or_b32 v65, s15, 12, v65
	v_mov_b32_e32 v66, 0
	s_delay_alu instid0(VALU_DEP_1) | instskip(SKIP_1) | instid1(VALU_DEP_1)
	v_lshlrev_b64 v[65:66], 4, v[65:66]
	s_waitcnt lgkmcnt(0)
	v_add_co_u32 v65, vcc_lo, s0, v65
	s_delay_alu instid0(VALU_DEP_2)
	v_add_co_ci_u32_e32 v66, vcc_lo, s1, v66, vcc_lo
	s_clause 0xf
	global_store_b128 v[65:66], v[61:64], off
	global_store_b128 v[65:66], v[57:60], off offset:16
	global_store_b128 v[65:66], v[53:56], off offset:32
	;; [unrolled: 1-line block ×15, first 2 shown]
	s_nop 0
	s_sendmsg sendmsg(MSG_DEALLOC_VGPRS)
	s_endpgm
	.section	.rodata,"a",@progbits
	.p2align	6, 0x0
	.amdhsa_kernel _Z20warp_exchange_kernelILj256ELj16ELj16E18ScatterToStripedOpoEvPT3_j
		.amdhsa_group_segment_fixed_size 65536
		.amdhsa_private_segment_fixed_size 0
		.amdhsa_kernarg_size 12
		.amdhsa_user_sgpr_count 15
		.amdhsa_user_sgpr_dispatch_ptr 0
		.amdhsa_user_sgpr_queue_ptr 0
		.amdhsa_user_sgpr_kernarg_segment_ptr 1
		.amdhsa_user_sgpr_dispatch_id 0
		.amdhsa_user_sgpr_private_segment_size 0
		.amdhsa_wavefront_size32 1
		.amdhsa_uses_dynamic_stack 0
		.amdhsa_enable_private_segment 0
		.amdhsa_system_sgpr_workgroup_id_x 1
		.amdhsa_system_sgpr_workgroup_id_y 0
		.amdhsa_system_sgpr_workgroup_id_z 0
		.amdhsa_system_sgpr_workgroup_info 0
		.amdhsa_system_vgpr_workitem_id 0
		.amdhsa_next_free_vgpr 69
		.amdhsa_next_free_sgpr 16
		.amdhsa_reserve_vcc 1
		.amdhsa_float_round_mode_32 0
		.amdhsa_float_round_mode_16_64 0
		.amdhsa_float_denorm_mode_32 3
		.amdhsa_float_denorm_mode_16_64 3
		.amdhsa_dx10_clamp 1
		.amdhsa_ieee_mode 1
		.amdhsa_fp16_overflow 0
		.amdhsa_workgroup_processor_mode 1
		.amdhsa_memory_ordered 1
		.amdhsa_forward_progress 0
		.amdhsa_shared_vgpr_count 0
		.amdhsa_exception_fp_ieee_invalid_op 0
		.amdhsa_exception_fp_denorm_src 0
		.amdhsa_exception_fp_ieee_div_zero 0
		.amdhsa_exception_fp_ieee_overflow 0
		.amdhsa_exception_fp_ieee_underflow 0
		.amdhsa_exception_fp_ieee_inexact 0
		.amdhsa_exception_int_div_zero 0
	.end_amdhsa_kernel
	.section	.text._Z20warp_exchange_kernelILj256ELj16ELj16E18ScatterToStripedOpoEvPT3_j,"axG",@progbits,_Z20warp_exchange_kernelILj256ELj16ELj16E18ScatterToStripedOpoEvPT3_j,comdat
.Lfunc_end92:
	.size	_Z20warp_exchange_kernelILj256ELj16ELj16E18ScatterToStripedOpoEvPT3_j, .Lfunc_end92-_Z20warp_exchange_kernelILj256ELj16ELj16E18ScatterToStripedOpoEvPT3_j
                                        ; -- End function
	.section	.AMDGPU.csdata,"",@progbits
; Kernel info:
; codeLenInByte = 1100
; NumSgprs: 18
; NumVgprs: 69
; ScratchSize: 0
; MemoryBound: 1
; FloatMode: 240
; IeeeMode: 1
; LDSByteSize: 65536 bytes/workgroup (compile time only)
; SGPRBlocks: 2
; VGPRBlocks: 8
; NumSGPRsForWavesPerEU: 18
; NumVGPRsForWavesPerEU: 69
; Occupancy: 4
; WaveLimiterHint : 1
; COMPUTE_PGM_RSRC2:SCRATCH_EN: 0
; COMPUTE_PGM_RSRC2:USER_SGPR: 15
; COMPUTE_PGM_RSRC2:TRAP_HANDLER: 0
; COMPUTE_PGM_RSRC2:TGID_X_EN: 1
; COMPUTE_PGM_RSRC2:TGID_Y_EN: 0
; COMPUTE_PGM_RSRC2:TGID_Z_EN: 0
; COMPUTE_PGM_RSRC2:TIDIG_COMP_CNT: 0
	.section	.text._Z20warp_exchange_kernelILj256ELj16ELj32E18ScatterToStripedOpoEvPT3_j,"axG",@progbits,_Z20warp_exchange_kernelILj256ELj16ELj32E18ScatterToStripedOpoEvPT3_j,comdat
	.protected	_Z20warp_exchange_kernelILj256ELj16ELj32E18ScatterToStripedOpoEvPT3_j ; -- Begin function _Z20warp_exchange_kernelILj256ELj16ELj32E18ScatterToStripedOpoEvPT3_j
	.globl	_Z20warp_exchange_kernelILj256ELj16ELj32E18ScatterToStripedOpoEvPT3_j
	.p2align	8
	.type	_Z20warp_exchange_kernelILj256ELj16ELj32E18ScatterToStripedOpoEvPT3_j,@function
_Z20warp_exchange_kernelILj256ELj16ELj32E18ScatterToStripedOpoEvPT3_j: ; @_Z20warp_exchange_kernelILj256ELj16ELj32E18ScatterToStripedOpoEvPT3_j
; %bb.0:
	s_load_b32 s2, s[0:1], 0x8
	v_lshlrev_b32_e32 v65, 4, v0
	s_delay_alu instid0(VALU_DEP_1)
	v_or_b32_e32 v57, 1, v65
	v_or_b32_e32 v53, 2, v65
	;; [unrolled: 1-line block ×15, first 2 shown]
	s_waitcnt lgkmcnt(0)
	s_cmp_eq_u32 s2, 0
	s_cbranch_scc1 .LBB93_3
; %bb.1:
	v_dual_mov_b32 v2, 0 :: v_dual_mov_b32 v63, 0
	v_dual_mov_b32 v64, 0 :: v_dual_mov_b32 v59, 0
	v_dual_mov_b32 v60, 0 :: v_dual_and_b32 v3, 0x1f0, v65
	s_delay_alu instid0(VALU_DEP_2) | instskip(NEXT) | instid1(VALU_DEP_4)
	v_dual_mov_b32 v23, v59 :: v_dual_lshlrev_b32 v0, 8, v0
	v_mov_b32_e32 v66, v2
	v_dual_mov_b32 v6, v2 :: v_dual_mov_b32 v61, v65
	s_delay_alu instid0(VALU_DEP_3)
	v_and_b32_e32 v4, 0xe000, v0
	v_mbcnt_lo_u32_b32 v0, -1, 0
	v_xor_b32_e32 v7, 0x1f0, v3
	v_dual_mov_b32 v10, v2 :: v_dual_mov_b32 v55, v59
	v_dual_mov_b32 v14, v2 :: v_dual_mov_b32 v51, v59
	v_dual_mov_b32 v18, v2 :: v_dual_mov_b32 v47, v59
	v_dual_mov_b32 v22, v2 :: v_dual_mov_b32 v43, v59
	v_dual_mov_b32 v26, v2 :: v_dual_mov_b32 v39, v59
	v_dual_mov_b32 v30, v2 :: v_dual_mov_b32 v35, v59
	v_dual_mov_b32 v34, v2 :: v_dual_mov_b32 v31, v59
	v_dual_mov_b32 v38, v2 :: v_dual_mov_b32 v27, v59
	v_dual_mov_b32 v42, v2 :: v_dual_mov_b32 v19, v59
	v_dual_mov_b32 v46, v2 :: v_dual_mov_b32 v15, v59
	v_dual_mov_b32 v50, v2 :: v_dual_mov_b32 v11, v59
	v_mov_b32_e32 v54, v2
	v_lshl_or_b32 v67, v7, 4, v4
	v_mov_b32_e32 v7, v59
	v_lshl_or_b32 v0, v0, 4, v4
	v_lshl_or_b32 v68, v3, 4, v4
	v_dual_mov_b32 v3, v59 :: v_dual_mov_b32 v58, v2
	v_mov_b32_e32 v62, v66
	v_mov_b32_e32 v56, v60
	;; [unrolled: 1-line block ×15, first 2 shown]
.LBB93_2:                               ; =>This Inner Loop Header: Depth=1
	s_waitcnt lgkmcnt(15)
	ds_store_b128 v67, v[61:64]
	s_waitcnt lgkmcnt(15)
	ds_store_b128 v68, v[57:60] offset:16
	s_waitcnt lgkmcnt(15)
	ds_store_b128 v67, v[53:56] offset:32
	;; [unrolled: 2-line block ×15, first 2 shown]
	; wave barrier
	ds_load_b128 v[61:64], v0
	ds_load_b128 v[57:60], v0 offset:512
	ds_load_b128 v[53:56], v0 offset:1024
	;; [unrolled: 1-line block ×15, first 2 shown]
	s_add_i32 s2, s2, -1
	s_delay_alu instid0(SALU_CYCLE_1)
	s_cmp_lg_u32 s2, 0
	; wave barrier
	s_cbranch_scc1 .LBB93_2
	s_branch .LBB93_4
.LBB93_3:
	v_dual_mov_b32 v66, 0 :: v_dual_mov_b32 v3, 0
	v_dual_mov_b32 v4, 0 :: v_dual_mov_b32 v7, 0
	;; [unrolled: 1-line block ×3, first 2 shown]
	s_delay_alu instid0(VALU_DEP_3) | instskip(SKIP_2) | instid1(VALU_DEP_4)
	v_mov_b32_e32 v58, v66
	v_mov_b32_e32 v54, v66
	;; [unrolled: 1-line block ×5, first 2 shown]
	v_dual_mov_b32 v20, v8 :: v_dual_mov_b32 v19, v7
	v_mov_b32_e32 v24, v8
	v_mov_b32_e32 v28, v8
	;; [unrolled: 1-line block ×11, first 2 shown]
	v_dual_mov_b32 v46, v66 :: v_dual_mov_b32 v23, v7
	v_dual_mov_b32 v42, v66 :: v_dual_mov_b32 v27, v7
	;; [unrolled: 1-line block ×13, first 2 shown]
.LBB93_4:
	s_load_b64 s[0:1], s[0:1], 0x0
	v_lshl_or_b32 v65, s15, 12, v65
	v_mov_b32_e32 v66, 0
	s_delay_alu instid0(VALU_DEP_1) | instskip(SKIP_1) | instid1(VALU_DEP_1)
	v_lshlrev_b64 v[65:66], 4, v[65:66]
	s_waitcnt lgkmcnt(0)
	v_add_co_u32 v65, vcc_lo, s0, v65
	s_delay_alu instid0(VALU_DEP_2)
	v_add_co_ci_u32_e32 v66, vcc_lo, s1, v66, vcc_lo
	s_clause 0xf
	global_store_b128 v[65:66], v[61:64], off
	global_store_b128 v[65:66], v[57:60], off offset:16
	global_store_b128 v[65:66], v[53:56], off offset:32
	;; [unrolled: 1-line block ×15, first 2 shown]
	s_nop 0
	s_sendmsg sendmsg(MSG_DEALLOC_VGPRS)
	s_endpgm
	.section	.rodata,"a",@progbits
	.p2align	6, 0x0
	.amdhsa_kernel _Z20warp_exchange_kernelILj256ELj16ELj32E18ScatterToStripedOpoEvPT3_j
		.amdhsa_group_segment_fixed_size 65536
		.amdhsa_private_segment_fixed_size 0
		.amdhsa_kernarg_size 12
		.amdhsa_user_sgpr_count 15
		.amdhsa_user_sgpr_dispatch_ptr 0
		.amdhsa_user_sgpr_queue_ptr 0
		.amdhsa_user_sgpr_kernarg_segment_ptr 1
		.amdhsa_user_sgpr_dispatch_id 0
		.amdhsa_user_sgpr_private_segment_size 0
		.amdhsa_wavefront_size32 1
		.amdhsa_uses_dynamic_stack 0
		.amdhsa_enable_private_segment 0
		.amdhsa_system_sgpr_workgroup_id_x 1
		.amdhsa_system_sgpr_workgroup_id_y 0
		.amdhsa_system_sgpr_workgroup_id_z 0
		.amdhsa_system_sgpr_workgroup_info 0
		.amdhsa_system_vgpr_workitem_id 0
		.amdhsa_next_free_vgpr 69
		.amdhsa_next_free_sgpr 16
		.amdhsa_reserve_vcc 1
		.amdhsa_float_round_mode_32 0
		.amdhsa_float_round_mode_16_64 0
		.amdhsa_float_denorm_mode_32 3
		.amdhsa_float_denorm_mode_16_64 3
		.amdhsa_dx10_clamp 1
		.amdhsa_ieee_mode 1
		.amdhsa_fp16_overflow 0
		.amdhsa_workgroup_processor_mode 1
		.amdhsa_memory_ordered 1
		.amdhsa_forward_progress 0
		.amdhsa_shared_vgpr_count 0
		.amdhsa_exception_fp_ieee_invalid_op 0
		.amdhsa_exception_fp_denorm_src 0
		.amdhsa_exception_fp_ieee_div_zero 0
		.amdhsa_exception_fp_ieee_overflow 0
		.amdhsa_exception_fp_ieee_underflow 0
		.amdhsa_exception_fp_ieee_inexact 0
		.amdhsa_exception_int_div_zero 0
	.end_amdhsa_kernel
	.section	.text._Z20warp_exchange_kernelILj256ELj16ELj32E18ScatterToStripedOpoEvPT3_j,"axG",@progbits,_Z20warp_exchange_kernelILj256ELj16ELj32E18ScatterToStripedOpoEvPT3_j,comdat
.Lfunc_end93:
	.size	_Z20warp_exchange_kernelILj256ELj16ELj32E18ScatterToStripedOpoEvPT3_j, .Lfunc_end93-_Z20warp_exchange_kernelILj256ELj16ELj32E18ScatterToStripedOpoEvPT3_j
                                        ; -- End function
	.section	.AMDGPU.csdata,"",@progbits
; Kernel info:
; codeLenInByte = 1096
; NumSgprs: 18
; NumVgprs: 69
; ScratchSize: 0
; MemoryBound: 1
; FloatMode: 240
; IeeeMode: 1
; LDSByteSize: 65536 bytes/workgroup (compile time only)
; SGPRBlocks: 2
; VGPRBlocks: 8
; NumSGPRsForWavesPerEU: 18
; NumVGPRsForWavesPerEU: 69
; Occupancy: 4
; WaveLimiterHint : 1
; COMPUTE_PGM_RSRC2:SCRATCH_EN: 0
; COMPUTE_PGM_RSRC2:USER_SGPR: 15
; COMPUTE_PGM_RSRC2:TRAP_HANDLER: 0
; COMPUTE_PGM_RSRC2:TGID_X_EN: 1
; COMPUTE_PGM_RSRC2:TGID_Y_EN: 0
; COMPUTE_PGM_RSRC2:TGID_Z_EN: 0
; COMPUTE_PGM_RSRC2:TIDIG_COMP_CNT: 0
	.section	.text._Z20warp_exchange_kernelILj256ELj1ELj64EN6common18BlockedToStripedOpEiEvPT3_j,"axG",@progbits,_Z20warp_exchange_kernelILj256ELj1ELj64EN6common18BlockedToStripedOpEiEvPT3_j,comdat
	.protected	_Z20warp_exchange_kernelILj256ELj1ELj64EN6common18BlockedToStripedOpEiEvPT3_j ; -- Begin function _Z20warp_exchange_kernelILj256ELj1ELj64EN6common18BlockedToStripedOpEiEvPT3_j
	.globl	_Z20warp_exchange_kernelILj256ELj1ELj64EN6common18BlockedToStripedOpEiEvPT3_j
	.p2align	8
	.type	_Z20warp_exchange_kernelILj256ELj1ELj64EN6common18BlockedToStripedOpEiEvPT3_j,@function
_Z20warp_exchange_kernelILj256ELj1ELj64EN6common18BlockedToStripedOpEiEvPT3_j: ; @_Z20warp_exchange_kernelILj256ELj1ELj64EN6common18BlockedToStripedOpEiEvPT3_j
; %bb.0:
	s_endpgm
	.section	.rodata,"a",@progbits
	.p2align	6, 0x0
	.amdhsa_kernel _Z20warp_exchange_kernelILj256ELj1ELj64EN6common18BlockedToStripedOpEiEvPT3_j
		.amdhsa_group_segment_fixed_size 0
		.amdhsa_private_segment_fixed_size 0
		.amdhsa_kernarg_size 12
		.amdhsa_user_sgpr_count 15
		.amdhsa_user_sgpr_dispatch_ptr 0
		.amdhsa_user_sgpr_queue_ptr 0
		.amdhsa_user_sgpr_kernarg_segment_ptr 1
		.amdhsa_user_sgpr_dispatch_id 0
		.amdhsa_user_sgpr_private_segment_size 0
		.amdhsa_wavefront_size32 1
		.amdhsa_uses_dynamic_stack 0
		.amdhsa_enable_private_segment 0
		.amdhsa_system_sgpr_workgroup_id_x 1
		.amdhsa_system_sgpr_workgroup_id_y 0
		.amdhsa_system_sgpr_workgroup_id_z 0
		.amdhsa_system_sgpr_workgroup_info 0
		.amdhsa_system_vgpr_workitem_id 0
		.amdhsa_next_free_vgpr 1
		.amdhsa_next_free_sgpr 1
		.amdhsa_reserve_vcc 0
		.amdhsa_float_round_mode_32 0
		.amdhsa_float_round_mode_16_64 0
		.amdhsa_float_denorm_mode_32 3
		.amdhsa_float_denorm_mode_16_64 3
		.amdhsa_dx10_clamp 1
		.amdhsa_ieee_mode 1
		.amdhsa_fp16_overflow 0
		.amdhsa_workgroup_processor_mode 1
		.amdhsa_memory_ordered 1
		.amdhsa_forward_progress 0
		.amdhsa_shared_vgpr_count 0
		.amdhsa_exception_fp_ieee_invalid_op 0
		.amdhsa_exception_fp_denorm_src 0
		.amdhsa_exception_fp_ieee_div_zero 0
		.amdhsa_exception_fp_ieee_overflow 0
		.amdhsa_exception_fp_ieee_underflow 0
		.amdhsa_exception_fp_ieee_inexact 0
		.amdhsa_exception_int_div_zero 0
	.end_amdhsa_kernel
	.section	.text._Z20warp_exchange_kernelILj256ELj1ELj64EN6common18BlockedToStripedOpEiEvPT3_j,"axG",@progbits,_Z20warp_exchange_kernelILj256ELj1ELj64EN6common18BlockedToStripedOpEiEvPT3_j,comdat
.Lfunc_end94:
	.size	_Z20warp_exchange_kernelILj256ELj1ELj64EN6common18BlockedToStripedOpEiEvPT3_j, .Lfunc_end94-_Z20warp_exchange_kernelILj256ELj1ELj64EN6common18BlockedToStripedOpEiEvPT3_j
                                        ; -- End function
	.section	.AMDGPU.csdata,"",@progbits
; Kernel info:
; codeLenInByte = 4
; NumSgprs: 0
; NumVgprs: 0
; ScratchSize: 0
; MemoryBound: 0
; FloatMode: 240
; IeeeMode: 1
; LDSByteSize: 0 bytes/workgroup (compile time only)
; SGPRBlocks: 0
; VGPRBlocks: 0
; NumSGPRsForWavesPerEU: 1
; NumVGPRsForWavesPerEU: 1
; Occupancy: 16
; WaveLimiterHint : 0
; COMPUTE_PGM_RSRC2:SCRATCH_EN: 0
; COMPUTE_PGM_RSRC2:USER_SGPR: 15
; COMPUTE_PGM_RSRC2:TRAP_HANDLER: 0
; COMPUTE_PGM_RSRC2:TGID_X_EN: 1
; COMPUTE_PGM_RSRC2:TGID_Y_EN: 0
; COMPUTE_PGM_RSRC2:TGID_Z_EN: 0
; COMPUTE_PGM_RSRC2:TIDIG_COMP_CNT: 0
	.section	.text._Z20warp_exchange_kernelILj256ELj4ELj64EN6common18BlockedToStripedOpEiEvPT3_j,"axG",@progbits,_Z20warp_exchange_kernelILj256ELj4ELj64EN6common18BlockedToStripedOpEiEvPT3_j,comdat
	.protected	_Z20warp_exchange_kernelILj256ELj4ELj64EN6common18BlockedToStripedOpEiEvPT3_j ; -- Begin function _Z20warp_exchange_kernelILj256ELj4ELj64EN6common18BlockedToStripedOpEiEvPT3_j
	.globl	_Z20warp_exchange_kernelILj256ELj4ELj64EN6common18BlockedToStripedOpEiEvPT3_j
	.p2align	8
	.type	_Z20warp_exchange_kernelILj256ELj4ELj64EN6common18BlockedToStripedOpEiEvPT3_j,@function
_Z20warp_exchange_kernelILj256ELj4ELj64EN6common18BlockedToStripedOpEiEvPT3_j: ; @_Z20warp_exchange_kernelILj256ELj4ELj64EN6common18BlockedToStripedOpEiEvPT3_j
; %bb.0:
	s_endpgm
	.section	.rodata,"a",@progbits
	.p2align	6, 0x0
	.amdhsa_kernel _Z20warp_exchange_kernelILj256ELj4ELj64EN6common18BlockedToStripedOpEiEvPT3_j
		.amdhsa_group_segment_fixed_size 0
		.amdhsa_private_segment_fixed_size 0
		.amdhsa_kernarg_size 12
		.amdhsa_user_sgpr_count 15
		.amdhsa_user_sgpr_dispatch_ptr 0
		.amdhsa_user_sgpr_queue_ptr 0
		.amdhsa_user_sgpr_kernarg_segment_ptr 1
		.amdhsa_user_sgpr_dispatch_id 0
		.amdhsa_user_sgpr_private_segment_size 0
		.amdhsa_wavefront_size32 1
		.amdhsa_uses_dynamic_stack 0
		.amdhsa_enable_private_segment 0
		.amdhsa_system_sgpr_workgroup_id_x 1
		.amdhsa_system_sgpr_workgroup_id_y 0
		.amdhsa_system_sgpr_workgroup_id_z 0
		.amdhsa_system_sgpr_workgroup_info 0
		.amdhsa_system_vgpr_workitem_id 0
		.amdhsa_next_free_vgpr 1
		.amdhsa_next_free_sgpr 1
		.amdhsa_reserve_vcc 0
		.amdhsa_float_round_mode_32 0
		.amdhsa_float_round_mode_16_64 0
		.amdhsa_float_denorm_mode_32 3
		.amdhsa_float_denorm_mode_16_64 3
		.amdhsa_dx10_clamp 1
		.amdhsa_ieee_mode 1
		.amdhsa_fp16_overflow 0
		.amdhsa_workgroup_processor_mode 1
		.amdhsa_memory_ordered 1
		.amdhsa_forward_progress 0
		.amdhsa_shared_vgpr_count 0
		.amdhsa_exception_fp_ieee_invalid_op 0
		.amdhsa_exception_fp_denorm_src 0
		.amdhsa_exception_fp_ieee_div_zero 0
		.amdhsa_exception_fp_ieee_overflow 0
		.amdhsa_exception_fp_ieee_underflow 0
		.amdhsa_exception_fp_ieee_inexact 0
		.amdhsa_exception_int_div_zero 0
	.end_amdhsa_kernel
	.section	.text._Z20warp_exchange_kernelILj256ELj4ELj64EN6common18BlockedToStripedOpEiEvPT3_j,"axG",@progbits,_Z20warp_exchange_kernelILj256ELj4ELj64EN6common18BlockedToStripedOpEiEvPT3_j,comdat
.Lfunc_end95:
	.size	_Z20warp_exchange_kernelILj256ELj4ELj64EN6common18BlockedToStripedOpEiEvPT3_j, .Lfunc_end95-_Z20warp_exchange_kernelILj256ELj4ELj64EN6common18BlockedToStripedOpEiEvPT3_j
                                        ; -- End function
	.section	.AMDGPU.csdata,"",@progbits
; Kernel info:
; codeLenInByte = 4
; NumSgprs: 0
; NumVgprs: 0
; ScratchSize: 0
; MemoryBound: 0
; FloatMode: 240
; IeeeMode: 1
; LDSByteSize: 0 bytes/workgroup (compile time only)
; SGPRBlocks: 0
; VGPRBlocks: 0
; NumSGPRsForWavesPerEU: 1
; NumVGPRsForWavesPerEU: 1
; Occupancy: 16
; WaveLimiterHint : 0
; COMPUTE_PGM_RSRC2:SCRATCH_EN: 0
; COMPUTE_PGM_RSRC2:USER_SGPR: 15
; COMPUTE_PGM_RSRC2:TRAP_HANDLER: 0
; COMPUTE_PGM_RSRC2:TGID_X_EN: 1
; COMPUTE_PGM_RSRC2:TGID_Y_EN: 0
; COMPUTE_PGM_RSRC2:TGID_Z_EN: 0
; COMPUTE_PGM_RSRC2:TIDIG_COMP_CNT: 0
	.section	.text._Z20warp_exchange_kernelILj256ELj16ELj64EN6common18BlockedToStripedOpEiEvPT3_j,"axG",@progbits,_Z20warp_exchange_kernelILj256ELj16ELj64EN6common18BlockedToStripedOpEiEvPT3_j,comdat
	.protected	_Z20warp_exchange_kernelILj256ELj16ELj64EN6common18BlockedToStripedOpEiEvPT3_j ; -- Begin function _Z20warp_exchange_kernelILj256ELj16ELj64EN6common18BlockedToStripedOpEiEvPT3_j
	.globl	_Z20warp_exchange_kernelILj256ELj16ELj64EN6common18BlockedToStripedOpEiEvPT3_j
	.p2align	8
	.type	_Z20warp_exchange_kernelILj256ELj16ELj64EN6common18BlockedToStripedOpEiEvPT3_j,@function
_Z20warp_exchange_kernelILj256ELj16ELj64EN6common18BlockedToStripedOpEiEvPT3_j: ; @_Z20warp_exchange_kernelILj256ELj16ELj64EN6common18BlockedToStripedOpEiEvPT3_j
; %bb.0:
	s_endpgm
	.section	.rodata,"a",@progbits
	.p2align	6, 0x0
	.amdhsa_kernel _Z20warp_exchange_kernelILj256ELj16ELj64EN6common18BlockedToStripedOpEiEvPT3_j
		.amdhsa_group_segment_fixed_size 0
		.amdhsa_private_segment_fixed_size 0
		.amdhsa_kernarg_size 12
		.amdhsa_user_sgpr_count 15
		.amdhsa_user_sgpr_dispatch_ptr 0
		.amdhsa_user_sgpr_queue_ptr 0
		.amdhsa_user_sgpr_kernarg_segment_ptr 1
		.amdhsa_user_sgpr_dispatch_id 0
		.amdhsa_user_sgpr_private_segment_size 0
		.amdhsa_wavefront_size32 1
		.amdhsa_uses_dynamic_stack 0
		.amdhsa_enable_private_segment 0
		.amdhsa_system_sgpr_workgroup_id_x 1
		.amdhsa_system_sgpr_workgroup_id_y 0
		.amdhsa_system_sgpr_workgroup_id_z 0
		.amdhsa_system_sgpr_workgroup_info 0
		.amdhsa_system_vgpr_workitem_id 0
		.amdhsa_next_free_vgpr 1
		.amdhsa_next_free_sgpr 1
		.amdhsa_reserve_vcc 0
		.amdhsa_float_round_mode_32 0
		.amdhsa_float_round_mode_16_64 0
		.amdhsa_float_denorm_mode_32 3
		.amdhsa_float_denorm_mode_16_64 3
		.amdhsa_dx10_clamp 1
		.amdhsa_ieee_mode 1
		.amdhsa_fp16_overflow 0
		.amdhsa_workgroup_processor_mode 1
		.amdhsa_memory_ordered 1
		.amdhsa_forward_progress 0
		.amdhsa_shared_vgpr_count 0
		.amdhsa_exception_fp_ieee_invalid_op 0
		.amdhsa_exception_fp_denorm_src 0
		.amdhsa_exception_fp_ieee_div_zero 0
		.amdhsa_exception_fp_ieee_overflow 0
		.amdhsa_exception_fp_ieee_underflow 0
		.amdhsa_exception_fp_ieee_inexact 0
		.amdhsa_exception_int_div_zero 0
	.end_amdhsa_kernel
	.section	.text._Z20warp_exchange_kernelILj256ELj16ELj64EN6common18BlockedToStripedOpEiEvPT3_j,"axG",@progbits,_Z20warp_exchange_kernelILj256ELj16ELj64EN6common18BlockedToStripedOpEiEvPT3_j,comdat
.Lfunc_end96:
	.size	_Z20warp_exchange_kernelILj256ELj16ELj64EN6common18BlockedToStripedOpEiEvPT3_j, .Lfunc_end96-_Z20warp_exchange_kernelILj256ELj16ELj64EN6common18BlockedToStripedOpEiEvPT3_j
                                        ; -- End function
	.section	.AMDGPU.csdata,"",@progbits
; Kernel info:
; codeLenInByte = 4
; NumSgprs: 0
; NumVgprs: 0
; ScratchSize: 0
; MemoryBound: 0
; FloatMode: 240
; IeeeMode: 1
; LDSByteSize: 0 bytes/workgroup (compile time only)
; SGPRBlocks: 0
; VGPRBlocks: 0
; NumSGPRsForWavesPerEU: 1
; NumVGPRsForWavesPerEU: 1
; Occupancy: 16
; WaveLimiterHint : 0
; COMPUTE_PGM_RSRC2:SCRATCH_EN: 0
; COMPUTE_PGM_RSRC2:USER_SGPR: 15
; COMPUTE_PGM_RSRC2:TRAP_HANDLER: 0
; COMPUTE_PGM_RSRC2:TGID_X_EN: 1
; COMPUTE_PGM_RSRC2:TGID_Y_EN: 0
; COMPUTE_PGM_RSRC2:TGID_Z_EN: 0
; COMPUTE_PGM_RSRC2:TIDIG_COMP_CNT: 0
	.section	.text._Z20warp_exchange_kernelILj256ELj64ELj64EN6common18BlockedToStripedOpEiEvPT3_j,"axG",@progbits,_Z20warp_exchange_kernelILj256ELj64ELj64EN6common18BlockedToStripedOpEiEvPT3_j,comdat
	.protected	_Z20warp_exchange_kernelILj256ELj64ELj64EN6common18BlockedToStripedOpEiEvPT3_j ; -- Begin function _Z20warp_exchange_kernelILj256ELj64ELj64EN6common18BlockedToStripedOpEiEvPT3_j
	.globl	_Z20warp_exchange_kernelILj256ELj64ELj64EN6common18BlockedToStripedOpEiEvPT3_j
	.p2align	8
	.type	_Z20warp_exchange_kernelILj256ELj64ELj64EN6common18BlockedToStripedOpEiEvPT3_j,@function
_Z20warp_exchange_kernelILj256ELj64ELj64EN6common18BlockedToStripedOpEiEvPT3_j: ; @_Z20warp_exchange_kernelILj256ELj64ELj64EN6common18BlockedToStripedOpEiEvPT3_j
; %bb.0:
	s_endpgm
	.section	.rodata,"a",@progbits
	.p2align	6, 0x0
	.amdhsa_kernel _Z20warp_exchange_kernelILj256ELj64ELj64EN6common18BlockedToStripedOpEiEvPT3_j
		.amdhsa_group_segment_fixed_size 0
		.amdhsa_private_segment_fixed_size 0
		.amdhsa_kernarg_size 12
		.amdhsa_user_sgpr_count 15
		.amdhsa_user_sgpr_dispatch_ptr 0
		.amdhsa_user_sgpr_queue_ptr 0
		.amdhsa_user_sgpr_kernarg_segment_ptr 1
		.amdhsa_user_sgpr_dispatch_id 0
		.amdhsa_user_sgpr_private_segment_size 0
		.amdhsa_wavefront_size32 1
		.amdhsa_uses_dynamic_stack 0
		.amdhsa_enable_private_segment 0
		.amdhsa_system_sgpr_workgroup_id_x 1
		.amdhsa_system_sgpr_workgroup_id_y 0
		.amdhsa_system_sgpr_workgroup_id_z 0
		.amdhsa_system_sgpr_workgroup_info 0
		.amdhsa_system_vgpr_workitem_id 0
		.amdhsa_next_free_vgpr 1
		.amdhsa_next_free_sgpr 1
		.amdhsa_reserve_vcc 0
		.amdhsa_float_round_mode_32 0
		.amdhsa_float_round_mode_16_64 0
		.amdhsa_float_denorm_mode_32 3
		.amdhsa_float_denorm_mode_16_64 3
		.amdhsa_dx10_clamp 1
		.amdhsa_ieee_mode 1
		.amdhsa_fp16_overflow 0
		.amdhsa_workgroup_processor_mode 1
		.amdhsa_memory_ordered 1
		.amdhsa_forward_progress 0
		.amdhsa_shared_vgpr_count 0
		.amdhsa_exception_fp_ieee_invalid_op 0
		.amdhsa_exception_fp_denorm_src 0
		.amdhsa_exception_fp_ieee_div_zero 0
		.amdhsa_exception_fp_ieee_overflow 0
		.amdhsa_exception_fp_ieee_underflow 0
		.amdhsa_exception_fp_ieee_inexact 0
		.amdhsa_exception_int_div_zero 0
	.end_amdhsa_kernel
	.section	.text._Z20warp_exchange_kernelILj256ELj64ELj64EN6common18BlockedToStripedOpEiEvPT3_j,"axG",@progbits,_Z20warp_exchange_kernelILj256ELj64ELj64EN6common18BlockedToStripedOpEiEvPT3_j,comdat
.Lfunc_end97:
	.size	_Z20warp_exchange_kernelILj256ELj64ELj64EN6common18BlockedToStripedOpEiEvPT3_j, .Lfunc_end97-_Z20warp_exchange_kernelILj256ELj64ELj64EN6common18BlockedToStripedOpEiEvPT3_j
                                        ; -- End function
	.section	.AMDGPU.csdata,"",@progbits
; Kernel info:
; codeLenInByte = 4
; NumSgprs: 0
; NumVgprs: 0
; ScratchSize: 0
; MemoryBound: 0
; FloatMode: 240
; IeeeMode: 1
; LDSByteSize: 0 bytes/workgroup (compile time only)
; SGPRBlocks: 0
; VGPRBlocks: 0
; NumSGPRsForWavesPerEU: 1
; NumVGPRsForWavesPerEU: 1
; Occupancy: 16
; WaveLimiterHint : 0
; COMPUTE_PGM_RSRC2:SCRATCH_EN: 0
; COMPUTE_PGM_RSRC2:USER_SGPR: 15
; COMPUTE_PGM_RSRC2:TRAP_HANDLER: 0
; COMPUTE_PGM_RSRC2:TGID_X_EN: 1
; COMPUTE_PGM_RSRC2:TGID_Y_EN: 0
; COMPUTE_PGM_RSRC2:TGID_Z_EN: 0
; COMPUTE_PGM_RSRC2:TIDIG_COMP_CNT: 0
	.section	.text._Z20warp_exchange_kernelILj256ELj1ELj64EN6common18StripedToBlockedOpEiEvPT3_j,"axG",@progbits,_Z20warp_exchange_kernelILj256ELj1ELj64EN6common18StripedToBlockedOpEiEvPT3_j,comdat
	.protected	_Z20warp_exchange_kernelILj256ELj1ELj64EN6common18StripedToBlockedOpEiEvPT3_j ; -- Begin function _Z20warp_exchange_kernelILj256ELj1ELj64EN6common18StripedToBlockedOpEiEvPT3_j
	.globl	_Z20warp_exchange_kernelILj256ELj1ELj64EN6common18StripedToBlockedOpEiEvPT3_j
	.p2align	8
	.type	_Z20warp_exchange_kernelILj256ELj1ELj64EN6common18StripedToBlockedOpEiEvPT3_j,@function
_Z20warp_exchange_kernelILj256ELj1ELj64EN6common18StripedToBlockedOpEiEvPT3_j: ; @_Z20warp_exchange_kernelILj256ELj1ELj64EN6common18StripedToBlockedOpEiEvPT3_j
; %bb.0:
	s_endpgm
	.section	.rodata,"a",@progbits
	.p2align	6, 0x0
	.amdhsa_kernel _Z20warp_exchange_kernelILj256ELj1ELj64EN6common18StripedToBlockedOpEiEvPT3_j
		.amdhsa_group_segment_fixed_size 0
		.amdhsa_private_segment_fixed_size 0
		.amdhsa_kernarg_size 12
		.amdhsa_user_sgpr_count 15
		.amdhsa_user_sgpr_dispatch_ptr 0
		.amdhsa_user_sgpr_queue_ptr 0
		.amdhsa_user_sgpr_kernarg_segment_ptr 1
		.amdhsa_user_sgpr_dispatch_id 0
		.amdhsa_user_sgpr_private_segment_size 0
		.amdhsa_wavefront_size32 1
		.amdhsa_uses_dynamic_stack 0
		.amdhsa_enable_private_segment 0
		.amdhsa_system_sgpr_workgroup_id_x 1
		.amdhsa_system_sgpr_workgroup_id_y 0
		.amdhsa_system_sgpr_workgroup_id_z 0
		.amdhsa_system_sgpr_workgroup_info 0
		.amdhsa_system_vgpr_workitem_id 0
		.amdhsa_next_free_vgpr 1
		.amdhsa_next_free_sgpr 1
		.amdhsa_reserve_vcc 0
		.amdhsa_float_round_mode_32 0
		.amdhsa_float_round_mode_16_64 0
		.amdhsa_float_denorm_mode_32 3
		.amdhsa_float_denorm_mode_16_64 3
		.amdhsa_dx10_clamp 1
		.amdhsa_ieee_mode 1
		.amdhsa_fp16_overflow 0
		.amdhsa_workgroup_processor_mode 1
		.amdhsa_memory_ordered 1
		.amdhsa_forward_progress 0
		.amdhsa_shared_vgpr_count 0
		.amdhsa_exception_fp_ieee_invalid_op 0
		.amdhsa_exception_fp_denorm_src 0
		.amdhsa_exception_fp_ieee_div_zero 0
		.amdhsa_exception_fp_ieee_overflow 0
		.amdhsa_exception_fp_ieee_underflow 0
		.amdhsa_exception_fp_ieee_inexact 0
		.amdhsa_exception_int_div_zero 0
	.end_amdhsa_kernel
	.section	.text._Z20warp_exchange_kernelILj256ELj1ELj64EN6common18StripedToBlockedOpEiEvPT3_j,"axG",@progbits,_Z20warp_exchange_kernelILj256ELj1ELj64EN6common18StripedToBlockedOpEiEvPT3_j,comdat
.Lfunc_end98:
	.size	_Z20warp_exchange_kernelILj256ELj1ELj64EN6common18StripedToBlockedOpEiEvPT3_j, .Lfunc_end98-_Z20warp_exchange_kernelILj256ELj1ELj64EN6common18StripedToBlockedOpEiEvPT3_j
                                        ; -- End function
	.section	.AMDGPU.csdata,"",@progbits
; Kernel info:
; codeLenInByte = 4
; NumSgprs: 0
; NumVgprs: 0
; ScratchSize: 0
; MemoryBound: 0
; FloatMode: 240
; IeeeMode: 1
; LDSByteSize: 0 bytes/workgroup (compile time only)
; SGPRBlocks: 0
; VGPRBlocks: 0
; NumSGPRsForWavesPerEU: 1
; NumVGPRsForWavesPerEU: 1
; Occupancy: 16
; WaveLimiterHint : 0
; COMPUTE_PGM_RSRC2:SCRATCH_EN: 0
; COMPUTE_PGM_RSRC2:USER_SGPR: 15
; COMPUTE_PGM_RSRC2:TRAP_HANDLER: 0
; COMPUTE_PGM_RSRC2:TGID_X_EN: 1
; COMPUTE_PGM_RSRC2:TGID_Y_EN: 0
; COMPUTE_PGM_RSRC2:TGID_Z_EN: 0
; COMPUTE_PGM_RSRC2:TIDIG_COMP_CNT: 0
	.section	.text._Z20warp_exchange_kernelILj256ELj4ELj64EN6common18StripedToBlockedOpEiEvPT3_j,"axG",@progbits,_Z20warp_exchange_kernelILj256ELj4ELj64EN6common18StripedToBlockedOpEiEvPT3_j,comdat
	.protected	_Z20warp_exchange_kernelILj256ELj4ELj64EN6common18StripedToBlockedOpEiEvPT3_j ; -- Begin function _Z20warp_exchange_kernelILj256ELj4ELj64EN6common18StripedToBlockedOpEiEvPT3_j
	.globl	_Z20warp_exchange_kernelILj256ELj4ELj64EN6common18StripedToBlockedOpEiEvPT3_j
	.p2align	8
	.type	_Z20warp_exchange_kernelILj256ELj4ELj64EN6common18StripedToBlockedOpEiEvPT3_j,@function
_Z20warp_exchange_kernelILj256ELj4ELj64EN6common18StripedToBlockedOpEiEvPT3_j: ; @_Z20warp_exchange_kernelILj256ELj4ELj64EN6common18StripedToBlockedOpEiEvPT3_j
; %bb.0:
	s_endpgm
	.section	.rodata,"a",@progbits
	.p2align	6, 0x0
	.amdhsa_kernel _Z20warp_exchange_kernelILj256ELj4ELj64EN6common18StripedToBlockedOpEiEvPT3_j
		.amdhsa_group_segment_fixed_size 0
		.amdhsa_private_segment_fixed_size 0
		.amdhsa_kernarg_size 12
		.amdhsa_user_sgpr_count 15
		.amdhsa_user_sgpr_dispatch_ptr 0
		.amdhsa_user_sgpr_queue_ptr 0
		.amdhsa_user_sgpr_kernarg_segment_ptr 1
		.amdhsa_user_sgpr_dispatch_id 0
		.amdhsa_user_sgpr_private_segment_size 0
		.amdhsa_wavefront_size32 1
		.amdhsa_uses_dynamic_stack 0
		.amdhsa_enable_private_segment 0
		.amdhsa_system_sgpr_workgroup_id_x 1
		.amdhsa_system_sgpr_workgroup_id_y 0
		.amdhsa_system_sgpr_workgroup_id_z 0
		.amdhsa_system_sgpr_workgroup_info 0
		.amdhsa_system_vgpr_workitem_id 0
		.amdhsa_next_free_vgpr 1
		.amdhsa_next_free_sgpr 1
		.amdhsa_reserve_vcc 0
		.amdhsa_float_round_mode_32 0
		.amdhsa_float_round_mode_16_64 0
		.amdhsa_float_denorm_mode_32 3
		.amdhsa_float_denorm_mode_16_64 3
		.amdhsa_dx10_clamp 1
		.amdhsa_ieee_mode 1
		.amdhsa_fp16_overflow 0
		.amdhsa_workgroup_processor_mode 1
		.amdhsa_memory_ordered 1
		.amdhsa_forward_progress 0
		.amdhsa_shared_vgpr_count 0
		.amdhsa_exception_fp_ieee_invalid_op 0
		.amdhsa_exception_fp_denorm_src 0
		.amdhsa_exception_fp_ieee_div_zero 0
		.amdhsa_exception_fp_ieee_overflow 0
		.amdhsa_exception_fp_ieee_underflow 0
		.amdhsa_exception_fp_ieee_inexact 0
		.amdhsa_exception_int_div_zero 0
	.end_amdhsa_kernel
	.section	.text._Z20warp_exchange_kernelILj256ELj4ELj64EN6common18StripedToBlockedOpEiEvPT3_j,"axG",@progbits,_Z20warp_exchange_kernelILj256ELj4ELj64EN6common18StripedToBlockedOpEiEvPT3_j,comdat
.Lfunc_end99:
	.size	_Z20warp_exchange_kernelILj256ELj4ELj64EN6common18StripedToBlockedOpEiEvPT3_j, .Lfunc_end99-_Z20warp_exchange_kernelILj256ELj4ELj64EN6common18StripedToBlockedOpEiEvPT3_j
                                        ; -- End function
	.section	.AMDGPU.csdata,"",@progbits
; Kernel info:
; codeLenInByte = 4
; NumSgprs: 0
; NumVgprs: 0
; ScratchSize: 0
; MemoryBound: 0
; FloatMode: 240
; IeeeMode: 1
; LDSByteSize: 0 bytes/workgroup (compile time only)
; SGPRBlocks: 0
; VGPRBlocks: 0
; NumSGPRsForWavesPerEU: 1
; NumVGPRsForWavesPerEU: 1
; Occupancy: 16
; WaveLimiterHint : 0
; COMPUTE_PGM_RSRC2:SCRATCH_EN: 0
; COMPUTE_PGM_RSRC2:USER_SGPR: 15
; COMPUTE_PGM_RSRC2:TRAP_HANDLER: 0
; COMPUTE_PGM_RSRC2:TGID_X_EN: 1
; COMPUTE_PGM_RSRC2:TGID_Y_EN: 0
; COMPUTE_PGM_RSRC2:TGID_Z_EN: 0
; COMPUTE_PGM_RSRC2:TIDIG_COMP_CNT: 0
	.section	.text._Z20warp_exchange_kernelILj256ELj16ELj64EN6common18StripedToBlockedOpEiEvPT3_j,"axG",@progbits,_Z20warp_exchange_kernelILj256ELj16ELj64EN6common18StripedToBlockedOpEiEvPT3_j,comdat
	.protected	_Z20warp_exchange_kernelILj256ELj16ELj64EN6common18StripedToBlockedOpEiEvPT3_j ; -- Begin function _Z20warp_exchange_kernelILj256ELj16ELj64EN6common18StripedToBlockedOpEiEvPT3_j
	.globl	_Z20warp_exchange_kernelILj256ELj16ELj64EN6common18StripedToBlockedOpEiEvPT3_j
	.p2align	8
	.type	_Z20warp_exchange_kernelILj256ELj16ELj64EN6common18StripedToBlockedOpEiEvPT3_j,@function
_Z20warp_exchange_kernelILj256ELj16ELj64EN6common18StripedToBlockedOpEiEvPT3_j: ; @_Z20warp_exchange_kernelILj256ELj16ELj64EN6common18StripedToBlockedOpEiEvPT3_j
; %bb.0:
	s_endpgm
	.section	.rodata,"a",@progbits
	.p2align	6, 0x0
	.amdhsa_kernel _Z20warp_exchange_kernelILj256ELj16ELj64EN6common18StripedToBlockedOpEiEvPT3_j
		.amdhsa_group_segment_fixed_size 0
		.amdhsa_private_segment_fixed_size 0
		.amdhsa_kernarg_size 12
		.amdhsa_user_sgpr_count 15
		.amdhsa_user_sgpr_dispatch_ptr 0
		.amdhsa_user_sgpr_queue_ptr 0
		.amdhsa_user_sgpr_kernarg_segment_ptr 1
		.amdhsa_user_sgpr_dispatch_id 0
		.amdhsa_user_sgpr_private_segment_size 0
		.amdhsa_wavefront_size32 1
		.amdhsa_uses_dynamic_stack 0
		.amdhsa_enable_private_segment 0
		.amdhsa_system_sgpr_workgroup_id_x 1
		.amdhsa_system_sgpr_workgroup_id_y 0
		.amdhsa_system_sgpr_workgroup_id_z 0
		.amdhsa_system_sgpr_workgroup_info 0
		.amdhsa_system_vgpr_workitem_id 0
		.amdhsa_next_free_vgpr 1
		.amdhsa_next_free_sgpr 1
		.amdhsa_reserve_vcc 0
		.amdhsa_float_round_mode_32 0
		.amdhsa_float_round_mode_16_64 0
		.amdhsa_float_denorm_mode_32 3
		.amdhsa_float_denorm_mode_16_64 3
		.amdhsa_dx10_clamp 1
		.amdhsa_ieee_mode 1
		.amdhsa_fp16_overflow 0
		.amdhsa_workgroup_processor_mode 1
		.amdhsa_memory_ordered 1
		.amdhsa_forward_progress 0
		.amdhsa_shared_vgpr_count 0
		.amdhsa_exception_fp_ieee_invalid_op 0
		.amdhsa_exception_fp_denorm_src 0
		.amdhsa_exception_fp_ieee_div_zero 0
		.amdhsa_exception_fp_ieee_overflow 0
		.amdhsa_exception_fp_ieee_underflow 0
		.amdhsa_exception_fp_ieee_inexact 0
		.amdhsa_exception_int_div_zero 0
	.end_amdhsa_kernel
	.section	.text._Z20warp_exchange_kernelILj256ELj16ELj64EN6common18StripedToBlockedOpEiEvPT3_j,"axG",@progbits,_Z20warp_exchange_kernelILj256ELj16ELj64EN6common18StripedToBlockedOpEiEvPT3_j,comdat
.Lfunc_end100:
	.size	_Z20warp_exchange_kernelILj256ELj16ELj64EN6common18StripedToBlockedOpEiEvPT3_j, .Lfunc_end100-_Z20warp_exchange_kernelILj256ELj16ELj64EN6common18StripedToBlockedOpEiEvPT3_j
                                        ; -- End function
	.section	.AMDGPU.csdata,"",@progbits
; Kernel info:
; codeLenInByte = 4
; NumSgprs: 0
; NumVgprs: 0
; ScratchSize: 0
; MemoryBound: 0
; FloatMode: 240
; IeeeMode: 1
; LDSByteSize: 0 bytes/workgroup (compile time only)
; SGPRBlocks: 0
; VGPRBlocks: 0
; NumSGPRsForWavesPerEU: 1
; NumVGPRsForWavesPerEU: 1
; Occupancy: 16
; WaveLimiterHint : 0
; COMPUTE_PGM_RSRC2:SCRATCH_EN: 0
; COMPUTE_PGM_RSRC2:USER_SGPR: 15
; COMPUTE_PGM_RSRC2:TRAP_HANDLER: 0
; COMPUTE_PGM_RSRC2:TGID_X_EN: 1
; COMPUTE_PGM_RSRC2:TGID_Y_EN: 0
; COMPUTE_PGM_RSRC2:TGID_Z_EN: 0
; COMPUTE_PGM_RSRC2:TIDIG_COMP_CNT: 0
	.section	.text._Z20warp_exchange_kernelILj256ELj64ELj64EN6common18StripedToBlockedOpEiEvPT3_j,"axG",@progbits,_Z20warp_exchange_kernelILj256ELj64ELj64EN6common18StripedToBlockedOpEiEvPT3_j,comdat
	.protected	_Z20warp_exchange_kernelILj256ELj64ELj64EN6common18StripedToBlockedOpEiEvPT3_j ; -- Begin function _Z20warp_exchange_kernelILj256ELj64ELj64EN6common18StripedToBlockedOpEiEvPT3_j
	.globl	_Z20warp_exchange_kernelILj256ELj64ELj64EN6common18StripedToBlockedOpEiEvPT3_j
	.p2align	8
	.type	_Z20warp_exchange_kernelILj256ELj64ELj64EN6common18StripedToBlockedOpEiEvPT3_j,@function
_Z20warp_exchange_kernelILj256ELj64ELj64EN6common18StripedToBlockedOpEiEvPT3_j: ; @_Z20warp_exchange_kernelILj256ELj64ELj64EN6common18StripedToBlockedOpEiEvPT3_j
; %bb.0:
	s_endpgm
	.section	.rodata,"a",@progbits
	.p2align	6, 0x0
	.amdhsa_kernel _Z20warp_exchange_kernelILj256ELj64ELj64EN6common18StripedToBlockedOpEiEvPT3_j
		.amdhsa_group_segment_fixed_size 0
		.amdhsa_private_segment_fixed_size 0
		.amdhsa_kernarg_size 12
		.amdhsa_user_sgpr_count 15
		.amdhsa_user_sgpr_dispatch_ptr 0
		.amdhsa_user_sgpr_queue_ptr 0
		.amdhsa_user_sgpr_kernarg_segment_ptr 1
		.amdhsa_user_sgpr_dispatch_id 0
		.amdhsa_user_sgpr_private_segment_size 0
		.amdhsa_wavefront_size32 1
		.amdhsa_uses_dynamic_stack 0
		.amdhsa_enable_private_segment 0
		.amdhsa_system_sgpr_workgroup_id_x 1
		.amdhsa_system_sgpr_workgroup_id_y 0
		.amdhsa_system_sgpr_workgroup_id_z 0
		.amdhsa_system_sgpr_workgroup_info 0
		.amdhsa_system_vgpr_workitem_id 0
		.amdhsa_next_free_vgpr 1
		.amdhsa_next_free_sgpr 1
		.amdhsa_reserve_vcc 0
		.amdhsa_float_round_mode_32 0
		.amdhsa_float_round_mode_16_64 0
		.amdhsa_float_denorm_mode_32 3
		.amdhsa_float_denorm_mode_16_64 3
		.amdhsa_dx10_clamp 1
		.amdhsa_ieee_mode 1
		.amdhsa_fp16_overflow 0
		.amdhsa_workgroup_processor_mode 1
		.amdhsa_memory_ordered 1
		.amdhsa_forward_progress 0
		.amdhsa_shared_vgpr_count 0
		.amdhsa_exception_fp_ieee_invalid_op 0
		.amdhsa_exception_fp_denorm_src 0
		.amdhsa_exception_fp_ieee_div_zero 0
		.amdhsa_exception_fp_ieee_overflow 0
		.amdhsa_exception_fp_ieee_underflow 0
		.amdhsa_exception_fp_ieee_inexact 0
		.amdhsa_exception_int_div_zero 0
	.end_amdhsa_kernel
	.section	.text._Z20warp_exchange_kernelILj256ELj64ELj64EN6common18StripedToBlockedOpEiEvPT3_j,"axG",@progbits,_Z20warp_exchange_kernelILj256ELj64ELj64EN6common18StripedToBlockedOpEiEvPT3_j,comdat
.Lfunc_end101:
	.size	_Z20warp_exchange_kernelILj256ELj64ELj64EN6common18StripedToBlockedOpEiEvPT3_j, .Lfunc_end101-_Z20warp_exchange_kernelILj256ELj64ELj64EN6common18StripedToBlockedOpEiEvPT3_j
                                        ; -- End function
	.section	.AMDGPU.csdata,"",@progbits
; Kernel info:
; codeLenInByte = 4
; NumSgprs: 0
; NumVgprs: 0
; ScratchSize: 0
; MemoryBound: 0
; FloatMode: 240
; IeeeMode: 1
; LDSByteSize: 0 bytes/workgroup (compile time only)
; SGPRBlocks: 0
; VGPRBlocks: 0
; NumSGPRsForWavesPerEU: 1
; NumVGPRsForWavesPerEU: 1
; Occupancy: 16
; WaveLimiterHint : 0
; COMPUTE_PGM_RSRC2:SCRATCH_EN: 0
; COMPUTE_PGM_RSRC2:USER_SGPR: 15
; COMPUTE_PGM_RSRC2:TRAP_HANDLER: 0
; COMPUTE_PGM_RSRC2:TGID_X_EN: 1
; COMPUTE_PGM_RSRC2:TGID_Y_EN: 0
; COMPUTE_PGM_RSRC2:TGID_Z_EN: 0
; COMPUTE_PGM_RSRC2:TIDIG_COMP_CNT: 0
	.section	.text._Z20warp_exchange_kernelILj256ELj1ELj64EN6common25BlockedToStripedShuffleOpEiEvPT3_j,"axG",@progbits,_Z20warp_exchange_kernelILj256ELj1ELj64EN6common25BlockedToStripedShuffleOpEiEvPT3_j,comdat
	.protected	_Z20warp_exchange_kernelILj256ELj1ELj64EN6common25BlockedToStripedShuffleOpEiEvPT3_j ; -- Begin function _Z20warp_exchange_kernelILj256ELj1ELj64EN6common25BlockedToStripedShuffleOpEiEvPT3_j
	.globl	_Z20warp_exchange_kernelILj256ELj1ELj64EN6common25BlockedToStripedShuffleOpEiEvPT3_j
	.p2align	8
	.type	_Z20warp_exchange_kernelILj256ELj1ELj64EN6common25BlockedToStripedShuffleOpEiEvPT3_j,@function
_Z20warp_exchange_kernelILj256ELj1ELj64EN6common25BlockedToStripedShuffleOpEiEvPT3_j: ; @_Z20warp_exchange_kernelILj256ELj1ELj64EN6common25BlockedToStripedShuffleOpEiEvPT3_j
; %bb.0:
	s_endpgm
	.section	.rodata,"a",@progbits
	.p2align	6, 0x0
	.amdhsa_kernel _Z20warp_exchange_kernelILj256ELj1ELj64EN6common25BlockedToStripedShuffleOpEiEvPT3_j
		.amdhsa_group_segment_fixed_size 0
		.amdhsa_private_segment_fixed_size 0
		.amdhsa_kernarg_size 12
		.amdhsa_user_sgpr_count 15
		.amdhsa_user_sgpr_dispatch_ptr 0
		.amdhsa_user_sgpr_queue_ptr 0
		.amdhsa_user_sgpr_kernarg_segment_ptr 1
		.amdhsa_user_sgpr_dispatch_id 0
		.amdhsa_user_sgpr_private_segment_size 0
		.amdhsa_wavefront_size32 1
		.amdhsa_uses_dynamic_stack 0
		.amdhsa_enable_private_segment 0
		.amdhsa_system_sgpr_workgroup_id_x 1
		.amdhsa_system_sgpr_workgroup_id_y 0
		.amdhsa_system_sgpr_workgroup_id_z 0
		.amdhsa_system_sgpr_workgroup_info 0
		.amdhsa_system_vgpr_workitem_id 0
		.amdhsa_next_free_vgpr 1
		.amdhsa_next_free_sgpr 1
		.amdhsa_reserve_vcc 0
		.amdhsa_float_round_mode_32 0
		.amdhsa_float_round_mode_16_64 0
		.amdhsa_float_denorm_mode_32 3
		.amdhsa_float_denorm_mode_16_64 3
		.amdhsa_dx10_clamp 1
		.amdhsa_ieee_mode 1
		.amdhsa_fp16_overflow 0
		.amdhsa_workgroup_processor_mode 1
		.amdhsa_memory_ordered 1
		.amdhsa_forward_progress 0
		.amdhsa_shared_vgpr_count 0
		.amdhsa_exception_fp_ieee_invalid_op 0
		.amdhsa_exception_fp_denorm_src 0
		.amdhsa_exception_fp_ieee_div_zero 0
		.amdhsa_exception_fp_ieee_overflow 0
		.amdhsa_exception_fp_ieee_underflow 0
		.amdhsa_exception_fp_ieee_inexact 0
		.amdhsa_exception_int_div_zero 0
	.end_amdhsa_kernel
	.section	.text._Z20warp_exchange_kernelILj256ELj1ELj64EN6common25BlockedToStripedShuffleOpEiEvPT3_j,"axG",@progbits,_Z20warp_exchange_kernelILj256ELj1ELj64EN6common25BlockedToStripedShuffleOpEiEvPT3_j,comdat
.Lfunc_end102:
	.size	_Z20warp_exchange_kernelILj256ELj1ELj64EN6common25BlockedToStripedShuffleOpEiEvPT3_j, .Lfunc_end102-_Z20warp_exchange_kernelILj256ELj1ELj64EN6common25BlockedToStripedShuffleOpEiEvPT3_j
                                        ; -- End function
	.section	.AMDGPU.csdata,"",@progbits
; Kernel info:
; codeLenInByte = 4
; NumSgprs: 0
; NumVgprs: 0
; ScratchSize: 0
; MemoryBound: 0
; FloatMode: 240
; IeeeMode: 1
; LDSByteSize: 0 bytes/workgroup (compile time only)
; SGPRBlocks: 0
; VGPRBlocks: 0
; NumSGPRsForWavesPerEU: 1
; NumVGPRsForWavesPerEU: 1
; Occupancy: 16
; WaveLimiterHint : 0
; COMPUTE_PGM_RSRC2:SCRATCH_EN: 0
; COMPUTE_PGM_RSRC2:USER_SGPR: 15
; COMPUTE_PGM_RSRC2:TRAP_HANDLER: 0
; COMPUTE_PGM_RSRC2:TGID_X_EN: 1
; COMPUTE_PGM_RSRC2:TGID_Y_EN: 0
; COMPUTE_PGM_RSRC2:TGID_Z_EN: 0
; COMPUTE_PGM_RSRC2:TIDIG_COMP_CNT: 0
	.section	.text._Z20warp_exchange_kernelILj256ELj4ELj64EN6common25BlockedToStripedShuffleOpEiEvPT3_j,"axG",@progbits,_Z20warp_exchange_kernelILj256ELj4ELj64EN6common25BlockedToStripedShuffleOpEiEvPT3_j,comdat
	.protected	_Z20warp_exchange_kernelILj256ELj4ELj64EN6common25BlockedToStripedShuffleOpEiEvPT3_j ; -- Begin function _Z20warp_exchange_kernelILj256ELj4ELj64EN6common25BlockedToStripedShuffleOpEiEvPT3_j
	.globl	_Z20warp_exchange_kernelILj256ELj4ELj64EN6common25BlockedToStripedShuffleOpEiEvPT3_j
	.p2align	8
	.type	_Z20warp_exchange_kernelILj256ELj4ELj64EN6common25BlockedToStripedShuffleOpEiEvPT3_j,@function
_Z20warp_exchange_kernelILj256ELj4ELj64EN6common25BlockedToStripedShuffleOpEiEvPT3_j: ; @_Z20warp_exchange_kernelILj256ELj4ELj64EN6common25BlockedToStripedShuffleOpEiEvPT3_j
; %bb.0:
	s_endpgm
	.section	.rodata,"a",@progbits
	.p2align	6, 0x0
	.amdhsa_kernel _Z20warp_exchange_kernelILj256ELj4ELj64EN6common25BlockedToStripedShuffleOpEiEvPT3_j
		.amdhsa_group_segment_fixed_size 0
		.amdhsa_private_segment_fixed_size 0
		.amdhsa_kernarg_size 12
		.amdhsa_user_sgpr_count 15
		.amdhsa_user_sgpr_dispatch_ptr 0
		.amdhsa_user_sgpr_queue_ptr 0
		.amdhsa_user_sgpr_kernarg_segment_ptr 1
		.amdhsa_user_sgpr_dispatch_id 0
		.amdhsa_user_sgpr_private_segment_size 0
		.amdhsa_wavefront_size32 1
		.amdhsa_uses_dynamic_stack 0
		.amdhsa_enable_private_segment 0
		.amdhsa_system_sgpr_workgroup_id_x 1
		.amdhsa_system_sgpr_workgroup_id_y 0
		.amdhsa_system_sgpr_workgroup_id_z 0
		.amdhsa_system_sgpr_workgroup_info 0
		.amdhsa_system_vgpr_workitem_id 0
		.amdhsa_next_free_vgpr 1
		.amdhsa_next_free_sgpr 1
		.amdhsa_reserve_vcc 0
		.amdhsa_float_round_mode_32 0
		.amdhsa_float_round_mode_16_64 0
		.amdhsa_float_denorm_mode_32 3
		.amdhsa_float_denorm_mode_16_64 3
		.amdhsa_dx10_clamp 1
		.amdhsa_ieee_mode 1
		.amdhsa_fp16_overflow 0
		.amdhsa_workgroup_processor_mode 1
		.amdhsa_memory_ordered 1
		.amdhsa_forward_progress 0
		.amdhsa_shared_vgpr_count 0
		.amdhsa_exception_fp_ieee_invalid_op 0
		.amdhsa_exception_fp_denorm_src 0
		.amdhsa_exception_fp_ieee_div_zero 0
		.amdhsa_exception_fp_ieee_overflow 0
		.amdhsa_exception_fp_ieee_underflow 0
		.amdhsa_exception_fp_ieee_inexact 0
		.amdhsa_exception_int_div_zero 0
	.end_amdhsa_kernel
	.section	.text._Z20warp_exchange_kernelILj256ELj4ELj64EN6common25BlockedToStripedShuffleOpEiEvPT3_j,"axG",@progbits,_Z20warp_exchange_kernelILj256ELj4ELj64EN6common25BlockedToStripedShuffleOpEiEvPT3_j,comdat
.Lfunc_end103:
	.size	_Z20warp_exchange_kernelILj256ELj4ELj64EN6common25BlockedToStripedShuffleOpEiEvPT3_j, .Lfunc_end103-_Z20warp_exchange_kernelILj256ELj4ELj64EN6common25BlockedToStripedShuffleOpEiEvPT3_j
                                        ; -- End function
	.section	.AMDGPU.csdata,"",@progbits
; Kernel info:
; codeLenInByte = 4
; NumSgprs: 0
; NumVgprs: 0
; ScratchSize: 0
; MemoryBound: 0
; FloatMode: 240
; IeeeMode: 1
; LDSByteSize: 0 bytes/workgroup (compile time only)
; SGPRBlocks: 0
; VGPRBlocks: 0
; NumSGPRsForWavesPerEU: 1
; NumVGPRsForWavesPerEU: 1
; Occupancy: 16
; WaveLimiterHint : 0
; COMPUTE_PGM_RSRC2:SCRATCH_EN: 0
; COMPUTE_PGM_RSRC2:USER_SGPR: 15
; COMPUTE_PGM_RSRC2:TRAP_HANDLER: 0
; COMPUTE_PGM_RSRC2:TGID_X_EN: 1
; COMPUTE_PGM_RSRC2:TGID_Y_EN: 0
; COMPUTE_PGM_RSRC2:TGID_Z_EN: 0
; COMPUTE_PGM_RSRC2:TIDIG_COMP_CNT: 0
	.section	.text._Z20warp_exchange_kernelILj256ELj16ELj64EN6common25BlockedToStripedShuffleOpEiEvPT3_j,"axG",@progbits,_Z20warp_exchange_kernelILj256ELj16ELj64EN6common25BlockedToStripedShuffleOpEiEvPT3_j,comdat
	.protected	_Z20warp_exchange_kernelILj256ELj16ELj64EN6common25BlockedToStripedShuffleOpEiEvPT3_j ; -- Begin function _Z20warp_exchange_kernelILj256ELj16ELj64EN6common25BlockedToStripedShuffleOpEiEvPT3_j
	.globl	_Z20warp_exchange_kernelILj256ELj16ELj64EN6common25BlockedToStripedShuffleOpEiEvPT3_j
	.p2align	8
	.type	_Z20warp_exchange_kernelILj256ELj16ELj64EN6common25BlockedToStripedShuffleOpEiEvPT3_j,@function
_Z20warp_exchange_kernelILj256ELj16ELj64EN6common25BlockedToStripedShuffleOpEiEvPT3_j: ; @_Z20warp_exchange_kernelILj256ELj16ELj64EN6common25BlockedToStripedShuffleOpEiEvPT3_j
; %bb.0:
	s_endpgm
	.section	.rodata,"a",@progbits
	.p2align	6, 0x0
	.amdhsa_kernel _Z20warp_exchange_kernelILj256ELj16ELj64EN6common25BlockedToStripedShuffleOpEiEvPT3_j
		.amdhsa_group_segment_fixed_size 0
		.amdhsa_private_segment_fixed_size 0
		.amdhsa_kernarg_size 12
		.amdhsa_user_sgpr_count 15
		.amdhsa_user_sgpr_dispatch_ptr 0
		.amdhsa_user_sgpr_queue_ptr 0
		.amdhsa_user_sgpr_kernarg_segment_ptr 1
		.amdhsa_user_sgpr_dispatch_id 0
		.amdhsa_user_sgpr_private_segment_size 0
		.amdhsa_wavefront_size32 1
		.amdhsa_uses_dynamic_stack 0
		.amdhsa_enable_private_segment 0
		.amdhsa_system_sgpr_workgroup_id_x 1
		.amdhsa_system_sgpr_workgroup_id_y 0
		.amdhsa_system_sgpr_workgroup_id_z 0
		.amdhsa_system_sgpr_workgroup_info 0
		.amdhsa_system_vgpr_workitem_id 0
		.amdhsa_next_free_vgpr 1
		.amdhsa_next_free_sgpr 1
		.amdhsa_reserve_vcc 0
		.amdhsa_float_round_mode_32 0
		.amdhsa_float_round_mode_16_64 0
		.amdhsa_float_denorm_mode_32 3
		.amdhsa_float_denorm_mode_16_64 3
		.amdhsa_dx10_clamp 1
		.amdhsa_ieee_mode 1
		.amdhsa_fp16_overflow 0
		.amdhsa_workgroup_processor_mode 1
		.amdhsa_memory_ordered 1
		.amdhsa_forward_progress 0
		.amdhsa_shared_vgpr_count 0
		.amdhsa_exception_fp_ieee_invalid_op 0
		.amdhsa_exception_fp_denorm_src 0
		.amdhsa_exception_fp_ieee_div_zero 0
		.amdhsa_exception_fp_ieee_overflow 0
		.amdhsa_exception_fp_ieee_underflow 0
		.amdhsa_exception_fp_ieee_inexact 0
		.amdhsa_exception_int_div_zero 0
	.end_amdhsa_kernel
	.section	.text._Z20warp_exchange_kernelILj256ELj16ELj64EN6common25BlockedToStripedShuffleOpEiEvPT3_j,"axG",@progbits,_Z20warp_exchange_kernelILj256ELj16ELj64EN6common25BlockedToStripedShuffleOpEiEvPT3_j,comdat
.Lfunc_end104:
	.size	_Z20warp_exchange_kernelILj256ELj16ELj64EN6common25BlockedToStripedShuffleOpEiEvPT3_j, .Lfunc_end104-_Z20warp_exchange_kernelILj256ELj16ELj64EN6common25BlockedToStripedShuffleOpEiEvPT3_j
                                        ; -- End function
	.section	.AMDGPU.csdata,"",@progbits
; Kernel info:
; codeLenInByte = 4
; NumSgprs: 0
; NumVgprs: 0
; ScratchSize: 0
; MemoryBound: 0
; FloatMode: 240
; IeeeMode: 1
; LDSByteSize: 0 bytes/workgroup (compile time only)
; SGPRBlocks: 0
; VGPRBlocks: 0
; NumSGPRsForWavesPerEU: 1
; NumVGPRsForWavesPerEU: 1
; Occupancy: 16
; WaveLimiterHint : 0
; COMPUTE_PGM_RSRC2:SCRATCH_EN: 0
; COMPUTE_PGM_RSRC2:USER_SGPR: 15
; COMPUTE_PGM_RSRC2:TRAP_HANDLER: 0
; COMPUTE_PGM_RSRC2:TGID_X_EN: 1
; COMPUTE_PGM_RSRC2:TGID_Y_EN: 0
; COMPUTE_PGM_RSRC2:TGID_Z_EN: 0
; COMPUTE_PGM_RSRC2:TIDIG_COMP_CNT: 0
	.section	.text._Z20warp_exchange_kernelILj256ELj64ELj64EN6common25BlockedToStripedShuffleOpEiEvPT3_j,"axG",@progbits,_Z20warp_exchange_kernelILj256ELj64ELj64EN6common25BlockedToStripedShuffleOpEiEvPT3_j,comdat
	.protected	_Z20warp_exchange_kernelILj256ELj64ELj64EN6common25BlockedToStripedShuffleOpEiEvPT3_j ; -- Begin function _Z20warp_exchange_kernelILj256ELj64ELj64EN6common25BlockedToStripedShuffleOpEiEvPT3_j
	.globl	_Z20warp_exchange_kernelILj256ELj64ELj64EN6common25BlockedToStripedShuffleOpEiEvPT3_j
	.p2align	8
	.type	_Z20warp_exchange_kernelILj256ELj64ELj64EN6common25BlockedToStripedShuffleOpEiEvPT3_j,@function
_Z20warp_exchange_kernelILj256ELj64ELj64EN6common25BlockedToStripedShuffleOpEiEvPT3_j: ; @_Z20warp_exchange_kernelILj256ELj64ELj64EN6common25BlockedToStripedShuffleOpEiEvPT3_j
; %bb.0:
	s_endpgm
	.section	.rodata,"a",@progbits
	.p2align	6, 0x0
	.amdhsa_kernel _Z20warp_exchange_kernelILj256ELj64ELj64EN6common25BlockedToStripedShuffleOpEiEvPT3_j
		.amdhsa_group_segment_fixed_size 0
		.amdhsa_private_segment_fixed_size 0
		.amdhsa_kernarg_size 12
		.amdhsa_user_sgpr_count 15
		.amdhsa_user_sgpr_dispatch_ptr 0
		.amdhsa_user_sgpr_queue_ptr 0
		.amdhsa_user_sgpr_kernarg_segment_ptr 1
		.amdhsa_user_sgpr_dispatch_id 0
		.amdhsa_user_sgpr_private_segment_size 0
		.amdhsa_wavefront_size32 1
		.amdhsa_uses_dynamic_stack 0
		.amdhsa_enable_private_segment 0
		.amdhsa_system_sgpr_workgroup_id_x 1
		.amdhsa_system_sgpr_workgroup_id_y 0
		.amdhsa_system_sgpr_workgroup_id_z 0
		.amdhsa_system_sgpr_workgroup_info 0
		.amdhsa_system_vgpr_workitem_id 0
		.amdhsa_next_free_vgpr 1
		.amdhsa_next_free_sgpr 1
		.amdhsa_reserve_vcc 0
		.amdhsa_float_round_mode_32 0
		.amdhsa_float_round_mode_16_64 0
		.amdhsa_float_denorm_mode_32 3
		.amdhsa_float_denorm_mode_16_64 3
		.amdhsa_dx10_clamp 1
		.amdhsa_ieee_mode 1
		.amdhsa_fp16_overflow 0
		.amdhsa_workgroup_processor_mode 1
		.amdhsa_memory_ordered 1
		.amdhsa_forward_progress 0
		.amdhsa_shared_vgpr_count 0
		.amdhsa_exception_fp_ieee_invalid_op 0
		.amdhsa_exception_fp_denorm_src 0
		.amdhsa_exception_fp_ieee_div_zero 0
		.amdhsa_exception_fp_ieee_overflow 0
		.amdhsa_exception_fp_ieee_underflow 0
		.amdhsa_exception_fp_ieee_inexact 0
		.amdhsa_exception_int_div_zero 0
	.end_amdhsa_kernel
	.section	.text._Z20warp_exchange_kernelILj256ELj64ELj64EN6common25BlockedToStripedShuffleOpEiEvPT3_j,"axG",@progbits,_Z20warp_exchange_kernelILj256ELj64ELj64EN6common25BlockedToStripedShuffleOpEiEvPT3_j,comdat
.Lfunc_end105:
	.size	_Z20warp_exchange_kernelILj256ELj64ELj64EN6common25BlockedToStripedShuffleOpEiEvPT3_j, .Lfunc_end105-_Z20warp_exchange_kernelILj256ELj64ELj64EN6common25BlockedToStripedShuffleOpEiEvPT3_j
                                        ; -- End function
	.section	.AMDGPU.csdata,"",@progbits
; Kernel info:
; codeLenInByte = 4
; NumSgprs: 0
; NumVgprs: 0
; ScratchSize: 0
; MemoryBound: 0
; FloatMode: 240
; IeeeMode: 1
; LDSByteSize: 0 bytes/workgroup (compile time only)
; SGPRBlocks: 0
; VGPRBlocks: 0
; NumSGPRsForWavesPerEU: 1
; NumVGPRsForWavesPerEU: 1
; Occupancy: 16
; WaveLimiterHint : 0
; COMPUTE_PGM_RSRC2:SCRATCH_EN: 0
; COMPUTE_PGM_RSRC2:USER_SGPR: 15
; COMPUTE_PGM_RSRC2:TRAP_HANDLER: 0
; COMPUTE_PGM_RSRC2:TGID_X_EN: 1
; COMPUTE_PGM_RSRC2:TGID_Y_EN: 0
; COMPUTE_PGM_RSRC2:TGID_Z_EN: 0
; COMPUTE_PGM_RSRC2:TIDIG_COMP_CNT: 0
	.section	.text._Z20warp_exchange_kernelILj256ELj1ELj64EN6common25StripedToBlockedShuffleOpEiEvPT3_j,"axG",@progbits,_Z20warp_exchange_kernelILj256ELj1ELj64EN6common25StripedToBlockedShuffleOpEiEvPT3_j,comdat
	.protected	_Z20warp_exchange_kernelILj256ELj1ELj64EN6common25StripedToBlockedShuffleOpEiEvPT3_j ; -- Begin function _Z20warp_exchange_kernelILj256ELj1ELj64EN6common25StripedToBlockedShuffleOpEiEvPT3_j
	.globl	_Z20warp_exchange_kernelILj256ELj1ELj64EN6common25StripedToBlockedShuffleOpEiEvPT3_j
	.p2align	8
	.type	_Z20warp_exchange_kernelILj256ELj1ELj64EN6common25StripedToBlockedShuffleOpEiEvPT3_j,@function
_Z20warp_exchange_kernelILj256ELj1ELj64EN6common25StripedToBlockedShuffleOpEiEvPT3_j: ; @_Z20warp_exchange_kernelILj256ELj1ELj64EN6common25StripedToBlockedShuffleOpEiEvPT3_j
; %bb.0:
	s_endpgm
	.section	.rodata,"a",@progbits
	.p2align	6, 0x0
	.amdhsa_kernel _Z20warp_exchange_kernelILj256ELj1ELj64EN6common25StripedToBlockedShuffleOpEiEvPT3_j
		.amdhsa_group_segment_fixed_size 0
		.amdhsa_private_segment_fixed_size 0
		.amdhsa_kernarg_size 12
		.amdhsa_user_sgpr_count 15
		.amdhsa_user_sgpr_dispatch_ptr 0
		.amdhsa_user_sgpr_queue_ptr 0
		.amdhsa_user_sgpr_kernarg_segment_ptr 1
		.amdhsa_user_sgpr_dispatch_id 0
		.amdhsa_user_sgpr_private_segment_size 0
		.amdhsa_wavefront_size32 1
		.amdhsa_uses_dynamic_stack 0
		.amdhsa_enable_private_segment 0
		.amdhsa_system_sgpr_workgroup_id_x 1
		.amdhsa_system_sgpr_workgroup_id_y 0
		.amdhsa_system_sgpr_workgroup_id_z 0
		.amdhsa_system_sgpr_workgroup_info 0
		.amdhsa_system_vgpr_workitem_id 0
		.amdhsa_next_free_vgpr 1
		.amdhsa_next_free_sgpr 1
		.amdhsa_reserve_vcc 0
		.amdhsa_float_round_mode_32 0
		.amdhsa_float_round_mode_16_64 0
		.amdhsa_float_denorm_mode_32 3
		.amdhsa_float_denorm_mode_16_64 3
		.amdhsa_dx10_clamp 1
		.amdhsa_ieee_mode 1
		.amdhsa_fp16_overflow 0
		.amdhsa_workgroup_processor_mode 1
		.amdhsa_memory_ordered 1
		.amdhsa_forward_progress 0
		.amdhsa_shared_vgpr_count 0
		.amdhsa_exception_fp_ieee_invalid_op 0
		.amdhsa_exception_fp_denorm_src 0
		.amdhsa_exception_fp_ieee_div_zero 0
		.amdhsa_exception_fp_ieee_overflow 0
		.amdhsa_exception_fp_ieee_underflow 0
		.amdhsa_exception_fp_ieee_inexact 0
		.amdhsa_exception_int_div_zero 0
	.end_amdhsa_kernel
	.section	.text._Z20warp_exchange_kernelILj256ELj1ELj64EN6common25StripedToBlockedShuffleOpEiEvPT3_j,"axG",@progbits,_Z20warp_exchange_kernelILj256ELj1ELj64EN6common25StripedToBlockedShuffleOpEiEvPT3_j,comdat
.Lfunc_end106:
	.size	_Z20warp_exchange_kernelILj256ELj1ELj64EN6common25StripedToBlockedShuffleOpEiEvPT3_j, .Lfunc_end106-_Z20warp_exchange_kernelILj256ELj1ELj64EN6common25StripedToBlockedShuffleOpEiEvPT3_j
                                        ; -- End function
	.section	.AMDGPU.csdata,"",@progbits
; Kernel info:
; codeLenInByte = 4
; NumSgprs: 0
; NumVgprs: 0
; ScratchSize: 0
; MemoryBound: 0
; FloatMode: 240
; IeeeMode: 1
; LDSByteSize: 0 bytes/workgroup (compile time only)
; SGPRBlocks: 0
; VGPRBlocks: 0
; NumSGPRsForWavesPerEU: 1
; NumVGPRsForWavesPerEU: 1
; Occupancy: 16
; WaveLimiterHint : 0
; COMPUTE_PGM_RSRC2:SCRATCH_EN: 0
; COMPUTE_PGM_RSRC2:USER_SGPR: 15
; COMPUTE_PGM_RSRC2:TRAP_HANDLER: 0
; COMPUTE_PGM_RSRC2:TGID_X_EN: 1
; COMPUTE_PGM_RSRC2:TGID_Y_EN: 0
; COMPUTE_PGM_RSRC2:TGID_Z_EN: 0
; COMPUTE_PGM_RSRC2:TIDIG_COMP_CNT: 0
	.section	.text._Z20warp_exchange_kernelILj256ELj4ELj64EN6common25StripedToBlockedShuffleOpEiEvPT3_j,"axG",@progbits,_Z20warp_exchange_kernelILj256ELj4ELj64EN6common25StripedToBlockedShuffleOpEiEvPT3_j,comdat
	.protected	_Z20warp_exchange_kernelILj256ELj4ELj64EN6common25StripedToBlockedShuffleOpEiEvPT3_j ; -- Begin function _Z20warp_exchange_kernelILj256ELj4ELj64EN6common25StripedToBlockedShuffleOpEiEvPT3_j
	.globl	_Z20warp_exchange_kernelILj256ELj4ELj64EN6common25StripedToBlockedShuffleOpEiEvPT3_j
	.p2align	8
	.type	_Z20warp_exchange_kernelILj256ELj4ELj64EN6common25StripedToBlockedShuffleOpEiEvPT3_j,@function
_Z20warp_exchange_kernelILj256ELj4ELj64EN6common25StripedToBlockedShuffleOpEiEvPT3_j: ; @_Z20warp_exchange_kernelILj256ELj4ELj64EN6common25StripedToBlockedShuffleOpEiEvPT3_j
; %bb.0:
	s_endpgm
	.section	.rodata,"a",@progbits
	.p2align	6, 0x0
	.amdhsa_kernel _Z20warp_exchange_kernelILj256ELj4ELj64EN6common25StripedToBlockedShuffleOpEiEvPT3_j
		.amdhsa_group_segment_fixed_size 0
		.amdhsa_private_segment_fixed_size 0
		.amdhsa_kernarg_size 12
		.amdhsa_user_sgpr_count 15
		.amdhsa_user_sgpr_dispatch_ptr 0
		.amdhsa_user_sgpr_queue_ptr 0
		.amdhsa_user_sgpr_kernarg_segment_ptr 1
		.amdhsa_user_sgpr_dispatch_id 0
		.amdhsa_user_sgpr_private_segment_size 0
		.amdhsa_wavefront_size32 1
		.amdhsa_uses_dynamic_stack 0
		.amdhsa_enable_private_segment 0
		.amdhsa_system_sgpr_workgroup_id_x 1
		.amdhsa_system_sgpr_workgroup_id_y 0
		.amdhsa_system_sgpr_workgroup_id_z 0
		.amdhsa_system_sgpr_workgroup_info 0
		.amdhsa_system_vgpr_workitem_id 0
		.amdhsa_next_free_vgpr 1
		.amdhsa_next_free_sgpr 1
		.amdhsa_reserve_vcc 0
		.amdhsa_float_round_mode_32 0
		.amdhsa_float_round_mode_16_64 0
		.amdhsa_float_denorm_mode_32 3
		.amdhsa_float_denorm_mode_16_64 3
		.amdhsa_dx10_clamp 1
		.amdhsa_ieee_mode 1
		.amdhsa_fp16_overflow 0
		.amdhsa_workgroup_processor_mode 1
		.amdhsa_memory_ordered 1
		.amdhsa_forward_progress 0
		.amdhsa_shared_vgpr_count 0
		.amdhsa_exception_fp_ieee_invalid_op 0
		.amdhsa_exception_fp_denorm_src 0
		.amdhsa_exception_fp_ieee_div_zero 0
		.amdhsa_exception_fp_ieee_overflow 0
		.amdhsa_exception_fp_ieee_underflow 0
		.amdhsa_exception_fp_ieee_inexact 0
		.amdhsa_exception_int_div_zero 0
	.end_amdhsa_kernel
	.section	.text._Z20warp_exchange_kernelILj256ELj4ELj64EN6common25StripedToBlockedShuffleOpEiEvPT3_j,"axG",@progbits,_Z20warp_exchange_kernelILj256ELj4ELj64EN6common25StripedToBlockedShuffleOpEiEvPT3_j,comdat
.Lfunc_end107:
	.size	_Z20warp_exchange_kernelILj256ELj4ELj64EN6common25StripedToBlockedShuffleOpEiEvPT3_j, .Lfunc_end107-_Z20warp_exchange_kernelILj256ELj4ELj64EN6common25StripedToBlockedShuffleOpEiEvPT3_j
                                        ; -- End function
	.section	.AMDGPU.csdata,"",@progbits
; Kernel info:
; codeLenInByte = 4
; NumSgprs: 0
; NumVgprs: 0
; ScratchSize: 0
; MemoryBound: 0
; FloatMode: 240
; IeeeMode: 1
; LDSByteSize: 0 bytes/workgroup (compile time only)
; SGPRBlocks: 0
; VGPRBlocks: 0
; NumSGPRsForWavesPerEU: 1
; NumVGPRsForWavesPerEU: 1
; Occupancy: 16
; WaveLimiterHint : 0
; COMPUTE_PGM_RSRC2:SCRATCH_EN: 0
; COMPUTE_PGM_RSRC2:USER_SGPR: 15
; COMPUTE_PGM_RSRC2:TRAP_HANDLER: 0
; COMPUTE_PGM_RSRC2:TGID_X_EN: 1
; COMPUTE_PGM_RSRC2:TGID_Y_EN: 0
; COMPUTE_PGM_RSRC2:TGID_Z_EN: 0
; COMPUTE_PGM_RSRC2:TIDIG_COMP_CNT: 0
	.section	.text._Z20warp_exchange_kernelILj256ELj16ELj64EN6common25StripedToBlockedShuffleOpEiEvPT3_j,"axG",@progbits,_Z20warp_exchange_kernelILj256ELj16ELj64EN6common25StripedToBlockedShuffleOpEiEvPT3_j,comdat
	.protected	_Z20warp_exchange_kernelILj256ELj16ELj64EN6common25StripedToBlockedShuffleOpEiEvPT3_j ; -- Begin function _Z20warp_exchange_kernelILj256ELj16ELj64EN6common25StripedToBlockedShuffleOpEiEvPT3_j
	.globl	_Z20warp_exchange_kernelILj256ELj16ELj64EN6common25StripedToBlockedShuffleOpEiEvPT3_j
	.p2align	8
	.type	_Z20warp_exchange_kernelILj256ELj16ELj64EN6common25StripedToBlockedShuffleOpEiEvPT3_j,@function
_Z20warp_exchange_kernelILj256ELj16ELj64EN6common25StripedToBlockedShuffleOpEiEvPT3_j: ; @_Z20warp_exchange_kernelILj256ELj16ELj64EN6common25StripedToBlockedShuffleOpEiEvPT3_j
; %bb.0:
	s_endpgm
	.section	.rodata,"a",@progbits
	.p2align	6, 0x0
	.amdhsa_kernel _Z20warp_exchange_kernelILj256ELj16ELj64EN6common25StripedToBlockedShuffleOpEiEvPT3_j
		.amdhsa_group_segment_fixed_size 0
		.amdhsa_private_segment_fixed_size 0
		.amdhsa_kernarg_size 12
		.amdhsa_user_sgpr_count 15
		.amdhsa_user_sgpr_dispatch_ptr 0
		.amdhsa_user_sgpr_queue_ptr 0
		.amdhsa_user_sgpr_kernarg_segment_ptr 1
		.amdhsa_user_sgpr_dispatch_id 0
		.amdhsa_user_sgpr_private_segment_size 0
		.amdhsa_wavefront_size32 1
		.amdhsa_uses_dynamic_stack 0
		.amdhsa_enable_private_segment 0
		.amdhsa_system_sgpr_workgroup_id_x 1
		.amdhsa_system_sgpr_workgroup_id_y 0
		.amdhsa_system_sgpr_workgroup_id_z 0
		.amdhsa_system_sgpr_workgroup_info 0
		.amdhsa_system_vgpr_workitem_id 0
		.amdhsa_next_free_vgpr 1
		.amdhsa_next_free_sgpr 1
		.amdhsa_reserve_vcc 0
		.amdhsa_float_round_mode_32 0
		.amdhsa_float_round_mode_16_64 0
		.amdhsa_float_denorm_mode_32 3
		.amdhsa_float_denorm_mode_16_64 3
		.amdhsa_dx10_clamp 1
		.amdhsa_ieee_mode 1
		.amdhsa_fp16_overflow 0
		.amdhsa_workgroup_processor_mode 1
		.amdhsa_memory_ordered 1
		.amdhsa_forward_progress 0
		.amdhsa_shared_vgpr_count 0
		.amdhsa_exception_fp_ieee_invalid_op 0
		.amdhsa_exception_fp_denorm_src 0
		.amdhsa_exception_fp_ieee_div_zero 0
		.amdhsa_exception_fp_ieee_overflow 0
		.amdhsa_exception_fp_ieee_underflow 0
		.amdhsa_exception_fp_ieee_inexact 0
		.amdhsa_exception_int_div_zero 0
	.end_amdhsa_kernel
	.section	.text._Z20warp_exchange_kernelILj256ELj16ELj64EN6common25StripedToBlockedShuffleOpEiEvPT3_j,"axG",@progbits,_Z20warp_exchange_kernelILj256ELj16ELj64EN6common25StripedToBlockedShuffleOpEiEvPT3_j,comdat
.Lfunc_end108:
	.size	_Z20warp_exchange_kernelILj256ELj16ELj64EN6common25StripedToBlockedShuffleOpEiEvPT3_j, .Lfunc_end108-_Z20warp_exchange_kernelILj256ELj16ELj64EN6common25StripedToBlockedShuffleOpEiEvPT3_j
                                        ; -- End function
	.section	.AMDGPU.csdata,"",@progbits
; Kernel info:
; codeLenInByte = 4
; NumSgprs: 0
; NumVgprs: 0
; ScratchSize: 0
; MemoryBound: 0
; FloatMode: 240
; IeeeMode: 1
; LDSByteSize: 0 bytes/workgroup (compile time only)
; SGPRBlocks: 0
; VGPRBlocks: 0
; NumSGPRsForWavesPerEU: 1
; NumVGPRsForWavesPerEU: 1
; Occupancy: 16
; WaveLimiterHint : 0
; COMPUTE_PGM_RSRC2:SCRATCH_EN: 0
; COMPUTE_PGM_RSRC2:USER_SGPR: 15
; COMPUTE_PGM_RSRC2:TRAP_HANDLER: 0
; COMPUTE_PGM_RSRC2:TGID_X_EN: 1
; COMPUTE_PGM_RSRC2:TGID_Y_EN: 0
; COMPUTE_PGM_RSRC2:TGID_Z_EN: 0
; COMPUTE_PGM_RSRC2:TIDIG_COMP_CNT: 0
	.section	.text._Z20warp_exchange_kernelILj256ELj64ELj64EN6common25StripedToBlockedShuffleOpEiEvPT3_j,"axG",@progbits,_Z20warp_exchange_kernelILj256ELj64ELj64EN6common25StripedToBlockedShuffleOpEiEvPT3_j,comdat
	.protected	_Z20warp_exchange_kernelILj256ELj64ELj64EN6common25StripedToBlockedShuffleOpEiEvPT3_j ; -- Begin function _Z20warp_exchange_kernelILj256ELj64ELj64EN6common25StripedToBlockedShuffleOpEiEvPT3_j
	.globl	_Z20warp_exchange_kernelILj256ELj64ELj64EN6common25StripedToBlockedShuffleOpEiEvPT3_j
	.p2align	8
	.type	_Z20warp_exchange_kernelILj256ELj64ELj64EN6common25StripedToBlockedShuffleOpEiEvPT3_j,@function
_Z20warp_exchange_kernelILj256ELj64ELj64EN6common25StripedToBlockedShuffleOpEiEvPT3_j: ; @_Z20warp_exchange_kernelILj256ELj64ELj64EN6common25StripedToBlockedShuffleOpEiEvPT3_j
; %bb.0:
	s_endpgm
	.section	.rodata,"a",@progbits
	.p2align	6, 0x0
	.amdhsa_kernel _Z20warp_exchange_kernelILj256ELj64ELj64EN6common25StripedToBlockedShuffleOpEiEvPT3_j
		.amdhsa_group_segment_fixed_size 0
		.amdhsa_private_segment_fixed_size 0
		.amdhsa_kernarg_size 12
		.amdhsa_user_sgpr_count 15
		.amdhsa_user_sgpr_dispatch_ptr 0
		.amdhsa_user_sgpr_queue_ptr 0
		.amdhsa_user_sgpr_kernarg_segment_ptr 1
		.amdhsa_user_sgpr_dispatch_id 0
		.amdhsa_user_sgpr_private_segment_size 0
		.amdhsa_wavefront_size32 1
		.amdhsa_uses_dynamic_stack 0
		.amdhsa_enable_private_segment 0
		.amdhsa_system_sgpr_workgroup_id_x 1
		.amdhsa_system_sgpr_workgroup_id_y 0
		.amdhsa_system_sgpr_workgroup_id_z 0
		.amdhsa_system_sgpr_workgroup_info 0
		.amdhsa_system_vgpr_workitem_id 0
		.amdhsa_next_free_vgpr 1
		.amdhsa_next_free_sgpr 1
		.amdhsa_reserve_vcc 0
		.amdhsa_float_round_mode_32 0
		.amdhsa_float_round_mode_16_64 0
		.amdhsa_float_denorm_mode_32 3
		.amdhsa_float_denorm_mode_16_64 3
		.amdhsa_dx10_clamp 1
		.amdhsa_ieee_mode 1
		.amdhsa_fp16_overflow 0
		.amdhsa_workgroup_processor_mode 1
		.amdhsa_memory_ordered 1
		.amdhsa_forward_progress 0
		.amdhsa_shared_vgpr_count 0
		.amdhsa_exception_fp_ieee_invalid_op 0
		.amdhsa_exception_fp_denorm_src 0
		.amdhsa_exception_fp_ieee_div_zero 0
		.amdhsa_exception_fp_ieee_overflow 0
		.amdhsa_exception_fp_ieee_underflow 0
		.amdhsa_exception_fp_ieee_inexact 0
		.amdhsa_exception_int_div_zero 0
	.end_amdhsa_kernel
	.section	.text._Z20warp_exchange_kernelILj256ELj64ELj64EN6common25StripedToBlockedShuffleOpEiEvPT3_j,"axG",@progbits,_Z20warp_exchange_kernelILj256ELj64ELj64EN6common25StripedToBlockedShuffleOpEiEvPT3_j,comdat
.Lfunc_end109:
	.size	_Z20warp_exchange_kernelILj256ELj64ELj64EN6common25StripedToBlockedShuffleOpEiEvPT3_j, .Lfunc_end109-_Z20warp_exchange_kernelILj256ELj64ELj64EN6common25StripedToBlockedShuffleOpEiEvPT3_j
                                        ; -- End function
	.section	.AMDGPU.csdata,"",@progbits
; Kernel info:
; codeLenInByte = 4
; NumSgprs: 0
; NumVgprs: 0
; ScratchSize: 0
; MemoryBound: 0
; FloatMode: 240
; IeeeMode: 1
; LDSByteSize: 0 bytes/workgroup (compile time only)
; SGPRBlocks: 0
; VGPRBlocks: 0
; NumSGPRsForWavesPerEU: 1
; NumVGPRsForWavesPerEU: 1
; Occupancy: 16
; WaveLimiterHint : 0
; COMPUTE_PGM_RSRC2:SCRATCH_EN: 0
; COMPUTE_PGM_RSRC2:USER_SGPR: 15
; COMPUTE_PGM_RSRC2:TRAP_HANDLER: 0
; COMPUTE_PGM_RSRC2:TGID_X_EN: 1
; COMPUTE_PGM_RSRC2:TGID_Y_EN: 0
; COMPUTE_PGM_RSRC2:TGID_Z_EN: 0
; COMPUTE_PGM_RSRC2:TIDIG_COMP_CNT: 0
	.section	.text._Z20warp_exchange_kernelILj256ELj1ELj64E18ScatterToStripedOpiEvPT3_j,"axG",@progbits,_Z20warp_exchange_kernelILj256ELj1ELj64E18ScatterToStripedOpiEvPT3_j,comdat
	.protected	_Z20warp_exchange_kernelILj256ELj1ELj64E18ScatterToStripedOpiEvPT3_j ; -- Begin function _Z20warp_exchange_kernelILj256ELj1ELj64E18ScatterToStripedOpiEvPT3_j
	.globl	_Z20warp_exchange_kernelILj256ELj1ELj64E18ScatterToStripedOpiEvPT3_j
	.p2align	8
	.type	_Z20warp_exchange_kernelILj256ELj1ELj64E18ScatterToStripedOpiEvPT3_j,@function
_Z20warp_exchange_kernelILj256ELj1ELj64E18ScatterToStripedOpiEvPT3_j: ; @_Z20warp_exchange_kernelILj256ELj1ELj64E18ScatterToStripedOpiEvPT3_j
; %bb.0:
	s_endpgm
	.section	.rodata,"a",@progbits
	.p2align	6, 0x0
	.amdhsa_kernel _Z20warp_exchange_kernelILj256ELj1ELj64E18ScatterToStripedOpiEvPT3_j
		.amdhsa_group_segment_fixed_size 0
		.amdhsa_private_segment_fixed_size 0
		.amdhsa_kernarg_size 12
		.amdhsa_user_sgpr_count 15
		.amdhsa_user_sgpr_dispatch_ptr 0
		.amdhsa_user_sgpr_queue_ptr 0
		.amdhsa_user_sgpr_kernarg_segment_ptr 1
		.amdhsa_user_sgpr_dispatch_id 0
		.amdhsa_user_sgpr_private_segment_size 0
		.amdhsa_wavefront_size32 1
		.amdhsa_uses_dynamic_stack 0
		.amdhsa_enable_private_segment 0
		.amdhsa_system_sgpr_workgroup_id_x 1
		.amdhsa_system_sgpr_workgroup_id_y 0
		.amdhsa_system_sgpr_workgroup_id_z 0
		.amdhsa_system_sgpr_workgroup_info 0
		.amdhsa_system_vgpr_workitem_id 0
		.amdhsa_next_free_vgpr 1
		.amdhsa_next_free_sgpr 1
		.amdhsa_reserve_vcc 0
		.amdhsa_float_round_mode_32 0
		.amdhsa_float_round_mode_16_64 0
		.amdhsa_float_denorm_mode_32 3
		.amdhsa_float_denorm_mode_16_64 3
		.amdhsa_dx10_clamp 1
		.amdhsa_ieee_mode 1
		.amdhsa_fp16_overflow 0
		.amdhsa_workgroup_processor_mode 1
		.amdhsa_memory_ordered 1
		.amdhsa_forward_progress 0
		.amdhsa_shared_vgpr_count 0
		.amdhsa_exception_fp_ieee_invalid_op 0
		.amdhsa_exception_fp_denorm_src 0
		.amdhsa_exception_fp_ieee_div_zero 0
		.amdhsa_exception_fp_ieee_overflow 0
		.amdhsa_exception_fp_ieee_underflow 0
		.amdhsa_exception_fp_ieee_inexact 0
		.amdhsa_exception_int_div_zero 0
	.end_amdhsa_kernel
	.section	.text._Z20warp_exchange_kernelILj256ELj1ELj64E18ScatterToStripedOpiEvPT3_j,"axG",@progbits,_Z20warp_exchange_kernelILj256ELj1ELj64E18ScatterToStripedOpiEvPT3_j,comdat
.Lfunc_end110:
	.size	_Z20warp_exchange_kernelILj256ELj1ELj64E18ScatterToStripedOpiEvPT3_j, .Lfunc_end110-_Z20warp_exchange_kernelILj256ELj1ELj64E18ScatterToStripedOpiEvPT3_j
                                        ; -- End function
	.section	.AMDGPU.csdata,"",@progbits
; Kernel info:
; codeLenInByte = 4
; NumSgprs: 0
; NumVgprs: 0
; ScratchSize: 0
; MemoryBound: 0
; FloatMode: 240
; IeeeMode: 1
; LDSByteSize: 0 bytes/workgroup (compile time only)
; SGPRBlocks: 0
; VGPRBlocks: 0
; NumSGPRsForWavesPerEU: 1
; NumVGPRsForWavesPerEU: 1
; Occupancy: 16
; WaveLimiterHint : 0
; COMPUTE_PGM_RSRC2:SCRATCH_EN: 0
; COMPUTE_PGM_RSRC2:USER_SGPR: 15
; COMPUTE_PGM_RSRC2:TRAP_HANDLER: 0
; COMPUTE_PGM_RSRC2:TGID_X_EN: 1
; COMPUTE_PGM_RSRC2:TGID_Y_EN: 0
; COMPUTE_PGM_RSRC2:TGID_Z_EN: 0
; COMPUTE_PGM_RSRC2:TIDIG_COMP_CNT: 0
	.section	.text._Z20warp_exchange_kernelILj256ELj4ELj64E18ScatterToStripedOpiEvPT3_j,"axG",@progbits,_Z20warp_exchange_kernelILj256ELj4ELj64E18ScatterToStripedOpiEvPT3_j,comdat
	.protected	_Z20warp_exchange_kernelILj256ELj4ELj64E18ScatterToStripedOpiEvPT3_j ; -- Begin function _Z20warp_exchange_kernelILj256ELj4ELj64E18ScatterToStripedOpiEvPT3_j
	.globl	_Z20warp_exchange_kernelILj256ELj4ELj64E18ScatterToStripedOpiEvPT3_j
	.p2align	8
	.type	_Z20warp_exchange_kernelILj256ELj4ELj64E18ScatterToStripedOpiEvPT3_j,@function
_Z20warp_exchange_kernelILj256ELj4ELj64E18ScatterToStripedOpiEvPT3_j: ; @_Z20warp_exchange_kernelILj256ELj4ELj64E18ScatterToStripedOpiEvPT3_j
; %bb.0:
	s_endpgm
	.section	.rodata,"a",@progbits
	.p2align	6, 0x0
	.amdhsa_kernel _Z20warp_exchange_kernelILj256ELj4ELj64E18ScatterToStripedOpiEvPT3_j
		.amdhsa_group_segment_fixed_size 0
		.amdhsa_private_segment_fixed_size 0
		.amdhsa_kernarg_size 12
		.amdhsa_user_sgpr_count 15
		.amdhsa_user_sgpr_dispatch_ptr 0
		.amdhsa_user_sgpr_queue_ptr 0
		.amdhsa_user_sgpr_kernarg_segment_ptr 1
		.amdhsa_user_sgpr_dispatch_id 0
		.amdhsa_user_sgpr_private_segment_size 0
		.amdhsa_wavefront_size32 1
		.amdhsa_uses_dynamic_stack 0
		.amdhsa_enable_private_segment 0
		.amdhsa_system_sgpr_workgroup_id_x 1
		.amdhsa_system_sgpr_workgroup_id_y 0
		.amdhsa_system_sgpr_workgroup_id_z 0
		.amdhsa_system_sgpr_workgroup_info 0
		.amdhsa_system_vgpr_workitem_id 0
		.amdhsa_next_free_vgpr 1
		.amdhsa_next_free_sgpr 1
		.amdhsa_reserve_vcc 0
		.amdhsa_float_round_mode_32 0
		.amdhsa_float_round_mode_16_64 0
		.amdhsa_float_denorm_mode_32 3
		.amdhsa_float_denorm_mode_16_64 3
		.amdhsa_dx10_clamp 1
		.amdhsa_ieee_mode 1
		.amdhsa_fp16_overflow 0
		.amdhsa_workgroup_processor_mode 1
		.amdhsa_memory_ordered 1
		.amdhsa_forward_progress 0
		.amdhsa_shared_vgpr_count 0
		.amdhsa_exception_fp_ieee_invalid_op 0
		.amdhsa_exception_fp_denorm_src 0
		.amdhsa_exception_fp_ieee_div_zero 0
		.amdhsa_exception_fp_ieee_overflow 0
		.amdhsa_exception_fp_ieee_underflow 0
		.amdhsa_exception_fp_ieee_inexact 0
		.amdhsa_exception_int_div_zero 0
	.end_amdhsa_kernel
	.section	.text._Z20warp_exchange_kernelILj256ELj4ELj64E18ScatterToStripedOpiEvPT3_j,"axG",@progbits,_Z20warp_exchange_kernelILj256ELj4ELj64E18ScatterToStripedOpiEvPT3_j,comdat
.Lfunc_end111:
	.size	_Z20warp_exchange_kernelILj256ELj4ELj64E18ScatterToStripedOpiEvPT3_j, .Lfunc_end111-_Z20warp_exchange_kernelILj256ELj4ELj64E18ScatterToStripedOpiEvPT3_j
                                        ; -- End function
	.section	.AMDGPU.csdata,"",@progbits
; Kernel info:
; codeLenInByte = 4
; NumSgprs: 0
; NumVgprs: 0
; ScratchSize: 0
; MemoryBound: 0
; FloatMode: 240
; IeeeMode: 1
; LDSByteSize: 0 bytes/workgroup (compile time only)
; SGPRBlocks: 0
; VGPRBlocks: 0
; NumSGPRsForWavesPerEU: 1
; NumVGPRsForWavesPerEU: 1
; Occupancy: 16
; WaveLimiterHint : 0
; COMPUTE_PGM_RSRC2:SCRATCH_EN: 0
; COMPUTE_PGM_RSRC2:USER_SGPR: 15
; COMPUTE_PGM_RSRC2:TRAP_HANDLER: 0
; COMPUTE_PGM_RSRC2:TGID_X_EN: 1
; COMPUTE_PGM_RSRC2:TGID_Y_EN: 0
; COMPUTE_PGM_RSRC2:TGID_Z_EN: 0
; COMPUTE_PGM_RSRC2:TIDIG_COMP_CNT: 0
	.section	.text._Z20warp_exchange_kernelILj256ELj16ELj64E18ScatterToStripedOpiEvPT3_j,"axG",@progbits,_Z20warp_exchange_kernelILj256ELj16ELj64E18ScatterToStripedOpiEvPT3_j,comdat
	.protected	_Z20warp_exchange_kernelILj256ELj16ELj64E18ScatterToStripedOpiEvPT3_j ; -- Begin function _Z20warp_exchange_kernelILj256ELj16ELj64E18ScatterToStripedOpiEvPT3_j
	.globl	_Z20warp_exchange_kernelILj256ELj16ELj64E18ScatterToStripedOpiEvPT3_j
	.p2align	8
	.type	_Z20warp_exchange_kernelILj256ELj16ELj64E18ScatterToStripedOpiEvPT3_j,@function
_Z20warp_exchange_kernelILj256ELj16ELj64E18ScatterToStripedOpiEvPT3_j: ; @_Z20warp_exchange_kernelILj256ELj16ELj64E18ScatterToStripedOpiEvPT3_j
; %bb.0:
	s_endpgm
	.section	.rodata,"a",@progbits
	.p2align	6, 0x0
	.amdhsa_kernel _Z20warp_exchange_kernelILj256ELj16ELj64E18ScatterToStripedOpiEvPT3_j
		.amdhsa_group_segment_fixed_size 0
		.amdhsa_private_segment_fixed_size 0
		.amdhsa_kernarg_size 12
		.amdhsa_user_sgpr_count 15
		.amdhsa_user_sgpr_dispatch_ptr 0
		.amdhsa_user_sgpr_queue_ptr 0
		.amdhsa_user_sgpr_kernarg_segment_ptr 1
		.amdhsa_user_sgpr_dispatch_id 0
		.amdhsa_user_sgpr_private_segment_size 0
		.amdhsa_wavefront_size32 1
		.amdhsa_uses_dynamic_stack 0
		.amdhsa_enable_private_segment 0
		.amdhsa_system_sgpr_workgroup_id_x 1
		.amdhsa_system_sgpr_workgroup_id_y 0
		.amdhsa_system_sgpr_workgroup_id_z 0
		.amdhsa_system_sgpr_workgroup_info 0
		.amdhsa_system_vgpr_workitem_id 0
		.amdhsa_next_free_vgpr 1
		.amdhsa_next_free_sgpr 1
		.amdhsa_reserve_vcc 0
		.amdhsa_float_round_mode_32 0
		.amdhsa_float_round_mode_16_64 0
		.amdhsa_float_denorm_mode_32 3
		.amdhsa_float_denorm_mode_16_64 3
		.amdhsa_dx10_clamp 1
		.amdhsa_ieee_mode 1
		.amdhsa_fp16_overflow 0
		.amdhsa_workgroup_processor_mode 1
		.amdhsa_memory_ordered 1
		.amdhsa_forward_progress 0
		.amdhsa_shared_vgpr_count 0
		.amdhsa_exception_fp_ieee_invalid_op 0
		.amdhsa_exception_fp_denorm_src 0
		.amdhsa_exception_fp_ieee_div_zero 0
		.amdhsa_exception_fp_ieee_overflow 0
		.amdhsa_exception_fp_ieee_underflow 0
		.amdhsa_exception_fp_ieee_inexact 0
		.amdhsa_exception_int_div_zero 0
	.end_amdhsa_kernel
	.section	.text._Z20warp_exchange_kernelILj256ELj16ELj64E18ScatterToStripedOpiEvPT3_j,"axG",@progbits,_Z20warp_exchange_kernelILj256ELj16ELj64E18ScatterToStripedOpiEvPT3_j,comdat
.Lfunc_end112:
	.size	_Z20warp_exchange_kernelILj256ELj16ELj64E18ScatterToStripedOpiEvPT3_j, .Lfunc_end112-_Z20warp_exchange_kernelILj256ELj16ELj64E18ScatterToStripedOpiEvPT3_j
                                        ; -- End function
	.section	.AMDGPU.csdata,"",@progbits
; Kernel info:
; codeLenInByte = 4
; NumSgprs: 0
; NumVgprs: 0
; ScratchSize: 0
; MemoryBound: 0
; FloatMode: 240
; IeeeMode: 1
; LDSByteSize: 0 bytes/workgroup (compile time only)
; SGPRBlocks: 0
; VGPRBlocks: 0
; NumSGPRsForWavesPerEU: 1
; NumVGPRsForWavesPerEU: 1
; Occupancy: 16
; WaveLimiterHint : 0
; COMPUTE_PGM_RSRC2:SCRATCH_EN: 0
; COMPUTE_PGM_RSRC2:USER_SGPR: 15
; COMPUTE_PGM_RSRC2:TRAP_HANDLER: 0
; COMPUTE_PGM_RSRC2:TGID_X_EN: 1
; COMPUTE_PGM_RSRC2:TGID_Y_EN: 0
; COMPUTE_PGM_RSRC2:TGID_Z_EN: 0
; COMPUTE_PGM_RSRC2:TIDIG_COMP_CNT: 0
	.section	.text._Z20warp_exchange_kernelILj256ELj1ELj64EN6common18BlockedToStripedOpEnEvPT3_j,"axG",@progbits,_Z20warp_exchange_kernelILj256ELj1ELj64EN6common18BlockedToStripedOpEnEvPT3_j,comdat
	.protected	_Z20warp_exchange_kernelILj256ELj1ELj64EN6common18BlockedToStripedOpEnEvPT3_j ; -- Begin function _Z20warp_exchange_kernelILj256ELj1ELj64EN6common18BlockedToStripedOpEnEvPT3_j
	.globl	_Z20warp_exchange_kernelILj256ELj1ELj64EN6common18BlockedToStripedOpEnEvPT3_j
	.p2align	8
	.type	_Z20warp_exchange_kernelILj256ELj1ELj64EN6common18BlockedToStripedOpEnEvPT3_j,@function
_Z20warp_exchange_kernelILj256ELj1ELj64EN6common18BlockedToStripedOpEnEvPT3_j: ; @_Z20warp_exchange_kernelILj256ELj1ELj64EN6common18BlockedToStripedOpEnEvPT3_j
; %bb.0:
	s_endpgm
	.section	.rodata,"a",@progbits
	.p2align	6, 0x0
	.amdhsa_kernel _Z20warp_exchange_kernelILj256ELj1ELj64EN6common18BlockedToStripedOpEnEvPT3_j
		.amdhsa_group_segment_fixed_size 0
		.amdhsa_private_segment_fixed_size 0
		.amdhsa_kernarg_size 12
		.amdhsa_user_sgpr_count 15
		.amdhsa_user_sgpr_dispatch_ptr 0
		.amdhsa_user_sgpr_queue_ptr 0
		.amdhsa_user_sgpr_kernarg_segment_ptr 1
		.amdhsa_user_sgpr_dispatch_id 0
		.amdhsa_user_sgpr_private_segment_size 0
		.amdhsa_wavefront_size32 1
		.amdhsa_uses_dynamic_stack 0
		.amdhsa_enable_private_segment 0
		.amdhsa_system_sgpr_workgroup_id_x 1
		.amdhsa_system_sgpr_workgroup_id_y 0
		.amdhsa_system_sgpr_workgroup_id_z 0
		.amdhsa_system_sgpr_workgroup_info 0
		.amdhsa_system_vgpr_workitem_id 0
		.amdhsa_next_free_vgpr 1
		.amdhsa_next_free_sgpr 1
		.amdhsa_reserve_vcc 0
		.amdhsa_float_round_mode_32 0
		.amdhsa_float_round_mode_16_64 0
		.amdhsa_float_denorm_mode_32 3
		.amdhsa_float_denorm_mode_16_64 3
		.amdhsa_dx10_clamp 1
		.amdhsa_ieee_mode 1
		.amdhsa_fp16_overflow 0
		.amdhsa_workgroup_processor_mode 1
		.amdhsa_memory_ordered 1
		.amdhsa_forward_progress 0
		.amdhsa_shared_vgpr_count 0
		.amdhsa_exception_fp_ieee_invalid_op 0
		.amdhsa_exception_fp_denorm_src 0
		.amdhsa_exception_fp_ieee_div_zero 0
		.amdhsa_exception_fp_ieee_overflow 0
		.amdhsa_exception_fp_ieee_underflow 0
		.amdhsa_exception_fp_ieee_inexact 0
		.amdhsa_exception_int_div_zero 0
	.end_amdhsa_kernel
	.section	.text._Z20warp_exchange_kernelILj256ELj1ELj64EN6common18BlockedToStripedOpEnEvPT3_j,"axG",@progbits,_Z20warp_exchange_kernelILj256ELj1ELj64EN6common18BlockedToStripedOpEnEvPT3_j,comdat
.Lfunc_end113:
	.size	_Z20warp_exchange_kernelILj256ELj1ELj64EN6common18BlockedToStripedOpEnEvPT3_j, .Lfunc_end113-_Z20warp_exchange_kernelILj256ELj1ELj64EN6common18BlockedToStripedOpEnEvPT3_j
                                        ; -- End function
	.section	.AMDGPU.csdata,"",@progbits
; Kernel info:
; codeLenInByte = 4
; NumSgprs: 0
; NumVgprs: 0
; ScratchSize: 0
; MemoryBound: 0
; FloatMode: 240
; IeeeMode: 1
; LDSByteSize: 0 bytes/workgroup (compile time only)
; SGPRBlocks: 0
; VGPRBlocks: 0
; NumSGPRsForWavesPerEU: 1
; NumVGPRsForWavesPerEU: 1
; Occupancy: 16
; WaveLimiterHint : 0
; COMPUTE_PGM_RSRC2:SCRATCH_EN: 0
; COMPUTE_PGM_RSRC2:USER_SGPR: 15
; COMPUTE_PGM_RSRC2:TRAP_HANDLER: 0
; COMPUTE_PGM_RSRC2:TGID_X_EN: 1
; COMPUTE_PGM_RSRC2:TGID_Y_EN: 0
; COMPUTE_PGM_RSRC2:TGID_Z_EN: 0
; COMPUTE_PGM_RSRC2:TIDIG_COMP_CNT: 0
	.section	.text._Z20warp_exchange_kernelILj256ELj4ELj64EN6common18BlockedToStripedOpEnEvPT3_j,"axG",@progbits,_Z20warp_exchange_kernelILj256ELj4ELj64EN6common18BlockedToStripedOpEnEvPT3_j,comdat
	.protected	_Z20warp_exchange_kernelILj256ELj4ELj64EN6common18BlockedToStripedOpEnEvPT3_j ; -- Begin function _Z20warp_exchange_kernelILj256ELj4ELj64EN6common18BlockedToStripedOpEnEvPT3_j
	.globl	_Z20warp_exchange_kernelILj256ELj4ELj64EN6common18BlockedToStripedOpEnEvPT3_j
	.p2align	8
	.type	_Z20warp_exchange_kernelILj256ELj4ELj64EN6common18BlockedToStripedOpEnEvPT3_j,@function
_Z20warp_exchange_kernelILj256ELj4ELj64EN6common18BlockedToStripedOpEnEvPT3_j: ; @_Z20warp_exchange_kernelILj256ELj4ELj64EN6common18BlockedToStripedOpEnEvPT3_j
; %bb.0:
	s_endpgm
	.section	.rodata,"a",@progbits
	.p2align	6, 0x0
	.amdhsa_kernel _Z20warp_exchange_kernelILj256ELj4ELj64EN6common18BlockedToStripedOpEnEvPT3_j
		.amdhsa_group_segment_fixed_size 0
		.amdhsa_private_segment_fixed_size 0
		.amdhsa_kernarg_size 12
		.amdhsa_user_sgpr_count 15
		.amdhsa_user_sgpr_dispatch_ptr 0
		.amdhsa_user_sgpr_queue_ptr 0
		.amdhsa_user_sgpr_kernarg_segment_ptr 1
		.amdhsa_user_sgpr_dispatch_id 0
		.amdhsa_user_sgpr_private_segment_size 0
		.amdhsa_wavefront_size32 1
		.amdhsa_uses_dynamic_stack 0
		.amdhsa_enable_private_segment 0
		.amdhsa_system_sgpr_workgroup_id_x 1
		.amdhsa_system_sgpr_workgroup_id_y 0
		.amdhsa_system_sgpr_workgroup_id_z 0
		.amdhsa_system_sgpr_workgroup_info 0
		.amdhsa_system_vgpr_workitem_id 0
		.amdhsa_next_free_vgpr 1
		.amdhsa_next_free_sgpr 1
		.amdhsa_reserve_vcc 0
		.amdhsa_float_round_mode_32 0
		.amdhsa_float_round_mode_16_64 0
		.amdhsa_float_denorm_mode_32 3
		.amdhsa_float_denorm_mode_16_64 3
		.amdhsa_dx10_clamp 1
		.amdhsa_ieee_mode 1
		.amdhsa_fp16_overflow 0
		.amdhsa_workgroup_processor_mode 1
		.amdhsa_memory_ordered 1
		.amdhsa_forward_progress 0
		.amdhsa_shared_vgpr_count 0
		.amdhsa_exception_fp_ieee_invalid_op 0
		.amdhsa_exception_fp_denorm_src 0
		.amdhsa_exception_fp_ieee_div_zero 0
		.amdhsa_exception_fp_ieee_overflow 0
		.amdhsa_exception_fp_ieee_underflow 0
		.amdhsa_exception_fp_ieee_inexact 0
		.amdhsa_exception_int_div_zero 0
	.end_amdhsa_kernel
	.section	.text._Z20warp_exchange_kernelILj256ELj4ELj64EN6common18BlockedToStripedOpEnEvPT3_j,"axG",@progbits,_Z20warp_exchange_kernelILj256ELj4ELj64EN6common18BlockedToStripedOpEnEvPT3_j,comdat
.Lfunc_end114:
	.size	_Z20warp_exchange_kernelILj256ELj4ELj64EN6common18BlockedToStripedOpEnEvPT3_j, .Lfunc_end114-_Z20warp_exchange_kernelILj256ELj4ELj64EN6common18BlockedToStripedOpEnEvPT3_j
                                        ; -- End function
	.section	.AMDGPU.csdata,"",@progbits
; Kernel info:
; codeLenInByte = 4
; NumSgprs: 0
; NumVgprs: 0
; ScratchSize: 0
; MemoryBound: 0
; FloatMode: 240
; IeeeMode: 1
; LDSByteSize: 0 bytes/workgroup (compile time only)
; SGPRBlocks: 0
; VGPRBlocks: 0
; NumSGPRsForWavesPerEU: 1
; NumVGPRsForWavesPerEU: 1
; Occupancy: 16
; WaveLimiterHint : 0
; COMPUTE_PGM_RSRC2:SCRATCH_EN: 0
; COMPUTE_PGM_RSRC2:USER_SGPR: 15
; COMPUTE_PGM_RSRC2:TRAP_HANDLER: 0
; COMPUTE_PGM_RSRC2:TGID_X_EN: 1
; COMPUTE_PGM_RSRC2:TGID_Y_EN: 0
; COMPUTE_PGM_RSRC2:TGID_Z_EN: 0
; COMPUTE_PGM_RSRC2:TIDIG_COMP_CNT: 0
	.section	.text._Z20warp_exchange_kernelILj256ELj16ELj64EN6common18BlockedToStripedOpEnEvPT3_j,"axG",@progbits,_Z20warp_exchange_kernelILj256ELj16ELj64EN6common18BlockedToStripedOpEnEvPT3_j,comdat
	.protected	_Z20warp_exchange_kernelILj256ELj16ELj64EN6common18BlockedToStripedOpEnEvPT3_j ; -- Begin function _Z20warp_exchange_kernelILj256ELj16ELj64EN6common18BlockedToStripedOpEnEvPT3_j
	.globl	_Z20warp_exchange_kernelILj256ELj16ELj64EN6common18BlockedToStripedOpEnEvPT3_j
	.p2align	8
	.type	_Z20warp_exchange_kernelILj256ELj16ELj64EN6common18BlockedToStripedOpEnEvPT3_j,@function
_Z20warp_exchange_kernelILj256ELj16ELj64EN6common18BlockedToStripedOpEnEvPT3_j: ; @_Z20warp_exchange_kernelILj256ELj16ELj64EN6common18BlockedToStripedOpEnEvPT3_j
; %bb.0:
	s_endpgm
	.section	.rodata,"a",@progbits
	.p2align	6, 0x0
	.amdhsa_kernel _Z20warp_exchange_kernelILj256ELj16ELj64EN6common18BlockedToStripedOpEnEvPT3_j
		.amdhsa_group_segment_fixed_size 0
		.amdhsa_private_segment_fixed_size 0
		.amdhsa_kernarg_size 12
		.amdhsa_user_sgpr_count 15
		.amdhsa_user_sgpr_dispatch_ptr 0
		.amdhsa_user_sgpr_queue_ptr 0
		.amdhsa_user_sgpr_kernarg_segment_ptr 1
		.amdhsa_user_sgpr_dispatch_id 0
		.amdhsa_user_sgpr_private_segment_size 0
		.amdhsa_wavefront_size32 1
		.amdhsa_uses_dynamic_stack 0
		.amdhsa_enable_private_segment 0
		.amdhsa_system_sgpr_workgroup_id_x 1
		.amdhsa_system_sgpr_workgroup_id_y 0
		.amdhsa_system_sgpr_workgroup_id_z 0
		.amdhsa_system_sgpr_workgroup_info 0
		.amdhsa_system_vgpr_workitem_id 0
		.amdhsa_next_free_vgpr 1
		.amdhsa_next_free_sgpr 1
		.amdhsa_reserve_vcc 0
		.amdhsa_float_round_mode_32 0
		.amdhsa_float_round_mode_16_64 0
		.amdhsa_float_denorm_mode_32 3
		.amdhsa_float_denorm_mode_16_64 3
		.amdhsa_dx10_clamp 1
		.amdhsa_ieee_mode 1
		.amdhsa_fp16_overflow 0
		.amdhsa_workgroup_processor_mode 1
		.amdhsa_memory_ordered 1
		.amdhsa_forward_progress 0
		.amdhsa_shared_vgpr_count 0
		.amdhsa_exception_fp_ieee_invalid_op 0
		.amdhsa_exception_fp_denorm_src 0
		.amdhsa_exception_fp_ieee_div_zero 0
		.amdhsa_exception_fp_ieee_overflow 0
		.amdhsa_exception_fp_ieee_underflow 0
		.amdhsa_exception_fp_ieee_inexact 0
		.amdhsa_exception_int_div_zero 0
	.end_amdhsa_kernel
	.section	.text._Z20warp_exchange_kernelILj256ELj16ELj64EN6common18BlockedToStripedOpEnEvPT3_j,"axG",@progbits,_Z20warp_exchange_kernelILj256ELj16ELj64EN6common18BlockedToStripedOpEnEvPT3_j,comdat
.Lfunc_end115:
	.size	_Z20warp_exchange_kernelILj256ELj16ELj64EN6common18BlockedToStripedOpEnEvPT3_j, .Lfunc_end115-_Z20warp_exchange_kernelILj256ELj16ELj64EN6common18BlockedToStripedOpEnEvPT3_j
                                        ; -- End function
	.section	.AMDGPU.csdata,"",@progbits
; Kernel info:
; codeLenInByte = 4
; NumSgprs: 0
; NumVgprs: 0
; ScratchSize: 0
; MemoryBound: 0
; FloatMode: 240
; IeeeMode: 1
; LDSByteSize: 0 bytes/workgroup (compile time only)
; SGPRBlocks: 0
; VGPRBlocks: 0
; NumSGPRsForWavesPerEU: 1
; NumVGPRsForWavesPerEU: 1
; Occupancy: 16
; WaveLimiterHint : 0
; COMPUTE_PGM_RSRC2:SCRATCH_EN: 0
; COMPUTE_PGM_RSRC2:USER_SGPR: 15
; COMPUTE_PGM_RSRC2:TRAP_HANDLER: 0
; COMPUTE_PGM_RSRC2:TGID_X_EN: 1
; COMPUTE_PGM_RSRC2:TGID_Y_EN: 0
; COMPUTE_PGM_RSRC2:TGID_Z_EN: 0
; COMPUTE_PGM_RSRC2:TIDIG_COMP_CNT: 0
	.section	.text._Z20warp_exchange_kernelILj256ELj1ELj64EN6common18StripedToBlockedOpEnEvPT3_j,"axG",@progbits,_Z20warp_exchange_kernelILj256ELj1ELj64EN6common18StripedToBlockedOpEnEvPT3_j,comdat
	.protected	_Z20warp_exchange_kernelILj256ELj1ELj64EN6common18StripedToBlockedOpEnEvPT3_j ; -- Begin function _Z20warp_exchange_kernelILj256ELj1ELj64EN6common18StripedToBlockedOpEnEvPT3_j
	.globl	_Z20warp_exchange_kernelILj256ELj1ELj64EN6common18StripedToBlockedOpEnEvPT3_j
	.p2align	8
	.type	_Z20warp_exchange_kernelILj256ELj1ELj64EN6common18StripedToBlockedOpEnEvPT3_j,@function
_Z20warp_exchange_kernelILj256ELj1ELj64EN6common18StripedToBlockedOpEnEvPT3_j: ; @_Z20warp_exchange_kernelILj256ELj1ELj64EN6common18StripedToBlockedOpEnEvPT3_j
; %bb.0:
	s_endpgm
	.section	.rodata,"a",@progbits
	.p2align	6, 0x0
	.amdhsa_kernel _Z20warp_exchange_kernelILj256ELj1ELj64EN6common18StripedToBlockedOpEnEvPT3_j
		.amdhsa_group_segment_fixed_size 0
		.amdhsa_private_segment_fixed_size 0
		.amdhsa_kernarg_size 12
		.amdhsa_user_sgpr_count 15
		.amdhsa_user_sgpr_dispatch_ptr 0
		.amdhsa_user_sgpr_queue_ptr 0
		.amdhsa_user_sgpr_kernarg_segment_ptr 1
		.amdhsa_user_sgpr_dispatch_id 0
		.amdhsa_user_sgpr_private_segment_size 0
		.amdhsa_wavefront_size32 1
		.amdhsa_uses_dynamic_stack 0
		.amdhsa_enable_private_segment 0
		.amdhsa_system_sgpr_workgroup_id_x 1
		.amdhsa_system_sgpr_workgroup_id_y 0
		.amdhsa_system_sgpr_workgroup_id_z 0
		.amdhsa_system_sgpr_workgroup_info 0
		.amdhsa_system_vgpr_workitem_id 0
		.amdhsa_next_free_vgpr 1
		.amdhsa_next_free_sgpr 1
		.amdhsa_reserve_vcc 0
		.amdhsa_float_round_mode_32 0
		.amdhsa_float_round_mode_16_64 0
		.amdhsa_float_denorm_mode_32 3
		.amdhsa_float_denorm_mode_16_64 3
		.amdhsa_dx10_clamp 1
		.amdhsa_ieee_mode 1
		.amdhsa_fp16_overflow 0
		.amdhsa_workgroup_processor_mode 1
		.amdhsa_memory_ordered 1
		.amdhsa_forward_progress 0
		.amdhsa_shared_vgpr_count 0
		.amdhsa_exception_fp_ieee_invalid_op 0
		.amdhsa_exception_fp_denorm_src 0
		.amdhsa_exception_fp_ieee_div_zero 0
		.amdhsa_exception_fp_ieee_overflow 0
		.amdhsa_exception_fp_ieee_underflow 0
		.amdhsa_exception_fp_ieee_inexact 0
		.amdhsa_exception_int_div_zero 0
	.end_amdhsa_kernel
	.section	.text._Z20warp_exchange_kernelILj256ELj1ELj64EN6common18StripedToBlockedOpEnEvPT3_j,"axG",@progbits,_Z20warp_exchange_kernelILj256ELj1ELj64EN6common18StripedToBlockedOpEnEvPT3_j,comdat
.Lfunc_end116:
	.size	_Z20warp_exchange_kernelILj256ELj1ELj64EN6common18StripedToBlockedOpEnEvPT3_j, .Lfunc_end116-_Z20warp_exchange_kernelILj256ELj1ELj64EN6common18StripedToBlockedOpEnEvPT3_j
                                        ; -- End function
	.section	.AMDGPU.csdata,"",@progbits
; Kernel info:
; codeLenInByte = 4
; NumSgprs: 0
; NumVgprs: 0
; ScratchSize: 0
; MemoryBound: 0
; FloatMode: 240
; IeeeMode: 1
; LDSByteSize: 0 bytes/workgroup (compile time only)
; SGPRBlocks: 0
; VGPRBlocks: 0
; NumSGPRsForWavesPerEU: 1
; NumVGPRsForWavesPerEU: 1
; Occupancy: 16
; WaveLimiterHint : 0
; COMPUTE_PGM_RSRC2:SCRATCH_EN: 0
; COMPUTE_PGM_RSRC2:USER_SGPR: 15
; COMPUTE_PGM_RSRC2:TRAP_HANDLER: 0
; COMPUTE_PGM_RSRC2:TGID_X_EN: 1
; COMPUTE_PGM_RSRC2:TGID_Y_EN: 0
; COMPUTE_PGM_RSRC2:TGID_Z_EN: 0
; COMPUTE_PGM_RSRC2:TIDIG_COMP_CNT: 0
	.section	.text._Z20warp_exchange_kernelILj256ELj4ELj64EN6common18StripedToBlockedOpEnEvPT3_j,"axG",@progbits,_Z20warp_exchange_kernelILj256ELj4ELj64EN6common18StripedToBlockedOpEnEvPT3_j,comdat
	.protected	_Z20warp_exchange_kernelILj256ELj4ELj64EN6common18StripedToBlockedOpEnEvPT3_j ; -- Begin function _Z20warp_exchange_kernelILj256ELj4ELj64EN6common18StripedToBlockedOpEnEvPT3_j
	.globl	_Z20warp_exchange_kernelILj256ELj4ELj64EN6common18StripedToBlockedOpEnEvPT3_j
	.p2align	8
	.type	_Z20warp_exchange_kernelILj256ELj4ELj64EN6common18StripedToBlockedOpEnEvPT3_j,@function
_Z20warp_exchange_kernelILj256ELj4ELj64EN6common18StripedToBlockedOpEnEvPT3_j: ; @_Z20warp_exchange_kernelILj256ELj4ELj64EN6common18StripedToBlockedOpEnEvPT3_j
; %bb.0:
	s_endpgm
	.section	.rodata,"a",@progbits
	.p2align	6, 0x0
	.amdhsa_kernel _Z20warp_exchange_kernelILj256ELj4ELj64EN6common18StripedToBlockedOpEnEvPT3_j
		.amdhsa_group_segment_fixed_size 0
		.amdhsa_private_segment_fixed_size 0
		.amdhsa_kernarg_size 12
		.amdhsa_user_sgpr_count 15
		.amdhsa_user_sgpr_dispatch_ptr 0
		.amdhsa_user_sgpr_queue_ptr 0
		.amdhsa_user_sgpr_kernarg_segment_ptr 1
		.amdhsa_user_sgpr_dispatch_id 0
		.amdhsa_user_sgpr_private_segment_size 0
		.amdhsa_wavefront_size32 1
		.amdhsa_uses_dynamic_stack 0
		.amdhsa_enable_private_segment 0
		.amdhsa_system_sgpr_workgroup_id_x 1
		.amdhsa_system_sgpr_workgroup_id_y 0
		.amdhsa_system_sgpr_workgroup_id_z 0
		.amdhsa_system_sgpr_workgroup_info 0
		.amdhsa_system_vgpr_workitem_id 0
		.amdhsa_next_free_vgpr 1
		.amdhsa_next_free_sgpr 1
		.amdhsa_reserve_vcc 0
		.amdhsa_float_round_mode_32 0
		.amdhsa_float_round_mode_16_64 0
		.amdhsa_float_denorm_mode_32 3
		.amdhsa_float_denorm_mode_16_64 3
		.amdhsa_dx10_clamp 1
		.amdhsa_ieee_mode 1
		.amdhsa_fp16_overflow 0
		.amdhsa_workgroup_processor_mode 1
		.amdhsa_memory_ordered 1
		.amdhsa_forward_progress 0
		.amdhsa_shared_vgpr_count 0
		.amdhsa_exception_fp_ieee_invalid_op 0
		.amdhsa_exception_fp_denorm_src 0
		.amdhsa_exception_fp_ieee_div_zero 0
		.amdhsa_exception_fp_ieee_overflow 0
		.amdhsa_exception_fp_ieee_underflow 0
		.amdhsa_exception_fp_ieee_inexact 0
		.amdhsa_exception_int_div_zero 0
	.end_amdhsa_kernel
	.section	.text._Z20warp_exchange_kernelILj256ELj4ELj64EN6common18StripedToBlockedOpEnEvPT3_j,"axG",@progbits,_Z20warp_exchange_kernelILj256ELj4ELj64EN6common18StripedToBlockedOpEnEvPT3_j,comdat
.Lfunc_end117:
	.size	_Z20warp_exchange_kernelILj256ELj4ELj64EN6common18StripedToBlockedOpEnEvPT3_j, .Lfunc_end117-_Z20warp_exchange_kernelILj256ELj4ELj64EN6common18StripedToBlockedOpEnEvPT3_j
                                        ; -- End function
	.section	.AMDGPU.csdata,"",@progbits
; Kernel info:
; codeLenInByte = 4
; NumSgprs: 0
; NumVgprs: 0
; ScratchSize: 0
; MemoryBound: 0
; FloatMode: 240
; IeeeMode: 1
; LDSByteSize: 0 bytes/workgroup (compile time only)
; SGPRBlocks: 0
; VGPRBlocks: 0
; NumSGPRsForWavesPerEU: 1
; NumVGPRsForWavesPerEU: 1
; Occupancy: 16
; WaveLimiterHint : 0
; COMPUTE_PGM_RSRC2:SCRATCH_EN: 0
; COMPUTE_PGM_RSRC2:USER_SGPR: 15
; COMPUTE_PGM_RSRC2:TRAP_HANDLER: 0
; COMPUTE_PGM_RSRC2:TGID_X_EN: 1
; COMPUTE_PGM_RSRC2:TGID_Y_EN: 0
; COMPUTE_PGM_RSRC2:TGID_Z_EN: 0
; COMPUTE_PGM_RSRC2:TIDIG_COMP_CNT: 0
	.section	.text._Z20warp_exchange_kernelILj256ELj16ELj64EN6common18StripedToBlockedOpEnEvPT3_j,"axG",@progbits,_Z20warp_exchange_kernelILj256ELj16ELj64EN6common18StripedToBlockedOpEnEvPT3_j,comdat
	.protected	_Z20warp_exchange_kernelILj256ELj16ELj64EN6common18StripedToBlockedOpEnEvPT3_j ; -- Begin function _Z20warp_exchange_kernelILj256ELj16ELj64EN6common18StripedToBlockedOpEnEvPT3_j
	.globl	_Z20warp_exchange_kernelILj256ELj16ELj64EN6common18StripedToBlockedOpEnEvPT3_j
	.p2align	8
	.type	_Z20warp_exchange_kernelILj256ELj16ELj64EN6common18StripedToBlockedOpEnEvPT3_j,@function
_Z20warp_exchange_kernelILj256ELj16ELj64EN6common18StripedToBlockedOpEnEvPT3_j: ; @_Z20warp_exchange_kernelILj256ELj16ELj64EN6common18StripedToBlockedOpEnEvPT3_j
; %bb.0:
	s_endpgm
	.section	.rodata,"a",@progbits
	.p2align	6, 0x0
	.amdhsa_kernel _Z20warp_exchange_kernelILj256ELj16ELj64EN6common18StripedToBlockedOpEnEvPT3_j
		.amdhsa_group_segment_fixed_size 0
		.amdhsa_private_segment_fixed_size 0
		.amdhsa_kernarg_size 12
		.amdhsa_user_sgpr_count 15
		.amdhsa_user_sgpr_dispatch_ptr 0
		.amdhsa_user_sgpr_queue_ptr 0
		.amdhsa_user_sgpr_kernarg_segment_ptr 1
		.amdhsa_user_sgpr_dispatch_id 0
		.amdhsa_user_sgpr_private_segment_size 0
		.amdhsa_wavefront_size32 1
		.amdhsa_uses_dynamic_stack 0
		.amdhsa_enable_private_segment 0
		.amdhsa_system_sgpr_workgroup_id_x 1
		.amdhsa_system_sgpr_workgroup_id_y 0
		.amdhsa_system_sgpr_workgroup_id_z 0
		.amdhsa_system_sgpr_workgroup_info 0
		.amdhsa_system_vgpr_workitem_id 0
		.amdhsa_next_free_vgpr 1
		.amdhsa_next_free_sgpr 1
		.amdhsa_reserve_vcc 0
		.amdhsa_float_round_mode_32 0
		.amdhsa_float_round_mode_16_64 0
		.amdhsa_float_denorm_mode_32 3
		.amdhsa_float_denorm_mode_16_64 3
		.amdhsa_dx10_clamp 1
		.amdhsa_ieee_mode 1
		.amdhsa_fp16_overflow 0
		.amdhsa_workgroup_processor_mode 1
		.amdhsa_memory_ordered 1
		.amdhsa_forward_progress 0
		.amdhsa_shared_vgpr_count 0
		.amdhsa_exception_fp_ieee_invalid_op 0
		.amdhsa_exception_fp_denorm_src 0
		.amdhsa_exception_fp_ieee_div_zero 0
		.amdhsa_exception_fp_ieee_overflow 0
		.amdhsa_exception_fp_ieee_underflow 0
		.amdhsa_exception_fp_ieee_inexact 0
		.amdhsa_exception_int_div_zero 0
	.end_amdhsa_kernel
	.section	.text._Z20warp_exchange_kernelILj256ELj16ELj64EN6common18StripedToBlockedOpEnEvPT3_j,"axG",@progbits,_Z20warp_exchange_kernelILj256ELj16ELj64EN6common18StripedToBlockedOpEnEvPT3_j,comdat
.Lfunc_end118:
	.size	_Z20warp_exchange_kernelILj256ELj16ELj64EN6common18StripedToBlockedOpEnEvPT3_j, .Lfunc_end118-_Z20warp_exchange_kernelILj256ELj16ELj64EN6common18StripedToBlockedOpEnEvPT3_j
                                        ; -- End function
	.section	.AMDGPU.csdata,"",@progbits
; Kernel info:
; codeLenInByte = 4
; NumSgprs: 0
; NumVgprs: 0
; ScratchSize: 0
; MemoryBound: 0
; FloatMode: 240
; IeeeMode: 1
; LDSByteSize: 0 bytes/workgroup (compile time only)
; SGPRBlocks: 0
; VGPRBlocks: 0
; NumSGPRsForWavesPerEU: 1
; NumVGPRsForWavesPerEU: 1
; Occupancy: 16
; WaveLimiterHint : 0
; COMPUTE_PGM_RSRC2:SCRATCH_EN: 0
; COMPUTE_PGM_RSRC2:USER_SGPR: 15
; COMPUTE_PGM_RSRC2:TRAP_HANDLER: 0
; COMPUTE_PGM_RSRC2:TGID_X_EN: 1
; COMPUTE_PGM_RSRC2:TGID_Y_EN: 0
; COMPUTE_PGM_RSRC2:TGID_Z_EN: 0
; COMPUTE_PGM_RSRC2:TIDIG_COMP_CNT: 0
	.section	.text._Z20warp_exchange_kernelILj256ELj1ELj64EN6common25BlockedToStripedShuffleOpEnEvPT3_j,"axG",@progbits,_Z20warp_exchange_kernelILj256ELj1ELj64EN6common25BlockedToStripedShuffleOpEnEvPT3_j,comdat
	.protected	_Z20warp_exchange_kernelILj256ELj1ELj64EN6common25BlockedToStripedShuffleOpEnEvPT3_j ; -- Begin function _Z20warp_exchange_kernelILj256ELj1ELj64EN6common25BlockedToStripedShuffleOpEnEvPT3_j
	.globl	_Z20warp_exchange_kernelILj256ELj1ELj64EN6common25BlockedToStripedShuffleOpEnEvPT3_j
	.p2align	8
	.type	_Z20warp_exchange_kernelILj256ELj1ELj64EN6common25BlockedToStripedShuffleOpEnEvPT3_j,@function
_Z20warp_exchange_kernelILj256ELj1ELj64EN6common25BlockedToStripedShuffleOpEnEvPT3_j: ; @_Z20warp_exchange_kernelILj256ELj1ELj64EN6common25BlockedToStripedShuffleOpEnEvPT3_j
; %bb.0:
	s_endpgm
	.section	.rodata,"a",@progbits
	.p2align	6, 0x0
	.amdhsa_kernel _Z20warp_exchange_kernelILj256ELj1ELj64EN6common25BlockedToStripedShuffleOpEnEvPT3_j
		.amdhsa_group_segment_fixed_size 0
		.amdhsa_private_segment_fixed_size 0
		.amdhsa_kernarg_size 12
		.amdhsa_user_sgpr_count 15
		.amdhsa_user_sgpr_dispatch_ptr 0
		.amdhsa_user_sgpr_queue_ptr 0
		.amdhsa_user_sgpr_kernarg_segment_ptr 1
		.amdhsa_user_sgpr_dispatch_id 0
		.amdhsa_user_sgpr_private_segment_size 0
		.amdhsa_wavefront_size32 1
		.amdhsa_uses_dynamic_stack 0
		.amdhsa_enable_private_segment 0
		.amdhsa_system_sgpr_workgroup_id_x 1
		.amdhsa_system_sgpr_workgroup_id_y 0
		.amdhsa_system_sgpr_workgroup_id_z 0
		.amdhsa_system_sgpr_workgroup_info 0
		.amdhsa_system_vgpr_workitem_id 0
		.amdhsa_next_free_vgpr 1
		.amdhsa_next_free_sgpr 1
		.amdhsa_reserve_vcc 0
		.amdhsa_float_round_mode_32 0
		.amdhsa_float_round_mode_16_64 0
		.amdhsa_float_denorm_mode_32 3
		.amdhsa_float_denorm_mode_16_64 3
		.amdhsa_dx10_clamp 1
		.amdhsa_ieee_mode 1
		.amdhsa_fp16_overflow 0
		.amdhsa_workgroup_processor_mode 1
		.amdhsa_memory_ordered 1
		.amdhsa_forward_progress 0
		.amdhsa_shared_vgpr_count 0
		.amdhsa_exception_fp_ieee_invalid_op 0
		.amdhsa_exception_fp_denorm_src 0
		.amdhsa_exception_fp_ieee_div_zero 0
		.amdhsa_exception_fp_ieee_overflow 0
		.amdhsa_exception_fp_ieee_underflow 0
		.amdhsa_exception_fp_ieee_inexact 0
		.amdhsa_exception_int_div_zero 0
	.end_amdhsa_kernel
	.section	.text._Z20warp_exchange_kernelILj256ELj1ELj64EN6common25BlockedToStripedShuffleOpEnEvPT3_j,"axG",@progbits,_Z20warp_exchange_kernelILj256ELj1ELj64EN6common25BlockedToStripedShuffleOpEnEvPT3_j,comdat
.Lfunc_end119:
	.size	_Z20warp_exchange_kernelILj256ELj1ELj64EN6common25BlockedToStripedShuffleOpEnEvPT3_j, .Lfunc_end119-_Z20warp_exchange_kernelILj256ELj1ELj64EN6common25BlockedToStripedShuffleOpEnEvPT3_j
                                        ; -- End function
	.section	.AMDGPU.csdata,"",@progbits
; Kernel info:
; codeLenInByte = 4
; NumSgprs: 0
; NumVgprs: 0
; ScratchSize: 0
; MemoryBound: 0
; FloatMode: 240
; IeeeMode: 1
; LDSByteSize: 0 bytes/workgroup (compile time only)
; SGPRBlocks: 0
; VGPRBlocks: 0
; NumSGPRsForWavesPerEU: 1
; NumVGPRsForWavesPerEU: 1
; Occupancy: 16
; WaveLimiterHint : 0
; COMPUTE_PGM_RSRC2:SCRATCH_EN: 0
; COMPUTE_PGM_RSRC2:USER_SGPR: 15
; COMPUTE_PGM_RSRC2:TRAP_HANDLER: 0
; COMPUTE_PGM_RSRC2:TGID_X_EN: 1
; COMPUTE_PGM_RSRC2:TGID_Y_EN: 0
; COMPUTE_PGM_RSRC2:TGID_Z_EN: 0
; COMPUTE_PGM_RSRC2:TIDIG_COMP_CNT: 0
	.section	.text._Z20warp_exchange_kernelILj256ELj4ELj64EN6common25BlockedToStripedShuffleOpEnEvPT3_j,"axG",@progbits,_Z20warp_exchange_kernelILj256ELj4ELj64EN6common25BlockedToStripedShuffleOpEnEvPT3_j,comdat
	.protected	_Z20warp_exchange_kernelILj256ELj4ELj64EN6common25BlockedToStripedShuffleOpEnEvPT3_j ; -- Begin function _Z20warp_exchange_kernelILj256ELj4ELj64EN6common25BlockedToStripedShuffleOpEnEvPT3_j
	.globl	_Z20warp_exchange_kernelILj256ELj4ELj64EN6common25BlockedToStripedShuffleOpEnEvPT3_j
	.p2align	8
	.type	_Z20warp_exchange_kernelILj256ELj4ELj64EN6common25BlockedToStripedShuffleOpEnEvPT3_j,@function
_Z20warp_exchange_kernelILj256ELj4ELj64EN6common25BlockedToStripedShuffleOpEnEvPT3_j: ; @_Z20warp_exchange_kernelILj256ELj4ELj64EN6common25BlockedToStripedShuffleOpEnEvPT3_j
; %bb.0:
	s_endpgm
	.section	.rodata,"a",@progbits
	.p2align	6, 0x0
	.amdhsa_kernel _Z20warp_exchange_kernelILj256ELj4ELj64EN6common25BlockedToStripedShuffleOpEnEvPT3_j
		.amdhsa_group_segment_fixed_size 0
		.amdhsa_private_segment_fixed_size 0
		.amdhsa_kernarg_size 12
		.amdhsa_user_sgpr_count 15
		.amdhsa_user_sgpr_dispatch_ptr 0
		.amdhsa_user_sgpr_queue_ptr 0
		.amdhsa_user_sgpr_kernarg_segment_ptr 1
		.amdhsa_user_sgpr_dispatch_id 0
		.amdhsa_user_sgpr_private_segment_size 0
		.amdhsa_wavefront_size32 1
		.amdhsa_uses_dynamic_stack 0
		.amdhsa_enable_private_segment 0
		.amdhsa_system_sgpr_workgroup_id_x 1
		.amdhsa_system_sgpr_workgroup_id_y 0
		.amdhsa_system_sgpr_workgroup_id_z 0
		.amdhsa_system_sgpr_workgroup_info 0
		.amdhsa_system_vgpr_workitem_id 0
		.amdhsa_next_free_vgpr 1
		.amdhsa_next_free_sgpr 1
		.amdhsa_reserve_vcc 0
		.amdhsa_float_round_mode_32 0
		.amdhsa_float_round_mode_16_64 0
		.amdhsa_float_denorm_mode_32 3
		.amdhsa_float_denorm_mode_16_64 3
		.amdhsa_dx10_clamp 1
		.amdhsa_ieee_mode 1
		.amdhsa_fp16_overflow 0
		.amdhsa_workgroup_processor_mode 1
		.amdhsa_memory_ordered 1
		.amdhsa_forward_progress 0
		.amdhsa_shared_vgpr_count 0
		.amdhsa_exception_fp_ieee_invalid_op 0
		.amdhsa_exception_fp_denorm_src 0
		.amdhsa_exception_fp_ieee_div_zero 0
		.amdhsa_exception_fp_ieee_overflow 0
		.amdhsa_exception_fp_ieee_underflow 0
		.amdhsa_exception_fp_ieee_inexact 0
		.amdhsa_exception_int_div_zero 0
	.end_amdhsa_kernel
	.section	.text._Z20warp_exchange_kernelILj256ELj4ELj64EN6common25BlockedToStripedShuffleOpEnEvPT3_j,"axG",@progbits,_Z20warp_exchange_kernelILj256ELj4ELj64EN6common25BlockedToStripedShuffleOpEnEvPT3_j,comdat
.Lfunc_end120:
	.size	_Z20warp_exchange_kernelILj256ELj4ELj64EN6common25BlockedToStripedShuffleOpEnEvPT3_j, .Lfunc_end120-_Z20warp_exchange_kernelILj256ELj4ELj64EN6common25BlockedToStripedShuffleOpEnEvPT3_j
                                        ; -- End function
	.section	.AMDGPU.csdata,"",@progbits
; Kernel info:
; codeLenInByte = 4
; NumSgprs: 0
; NumVgprs: 0
; ScratchSize: 0
; MemoryBound: 0
; FloatMode: 240
; IeeeMode: 1
; LDSByteSize: 0 bytes/workgroup (compile time only)
; SGPRBlocks: 0
; VGPRBlocks: 0
; NumSGPRsForWavesPerEU: 1
; NumVGPRsForWavesPerEU: 1
; Occupancy: 16
; WaveLimiterHint : 0
; COMPUTE_PGM_RSRC2:SCRATCH_EN: 0
; COMPUTE_PGM_RSRC2:USER_SGPR: 15
; COMPUTE_PGM_RSRC2:TRAP_HANDLER: 0
; COMPUTE_PGM_RSRC2:TGID_X_EN: 1
; COMPUTE_PGM_RSRC2:TGID_Y_EN: 0
; COMPUTE_PGM_RSRC2:TGID_Z_EN: 0
; COMPUTE_PGM_RSRC2:TIDIG_COMP_CNT: 0
	.section	.text._Z20warp_exchange_kernelILj256ELj16ELj64EN6common25BlockedToStripedShuffleOpEnEvPT3_j,"axG",@progbits,_Z20warp_exchange_kernelILj256ELj16ELj64EN6common25BlockedToStripedShuffleOpEnEvPT3_j,comdat
	.protected	_Z20warp_exchange_kernelILj256ELj16ELj64EN6common25BlockedToStripedShuffleOpEnEvPT3_j ; -- Begin function _Z20warp_exchange_kernelILj256ELj16ELj64EN6common25BlockedToStripedShuffleOpEnEvPT3_j
	.globl	_Z20warp_exchange_kernelILj256ELj16ELj64EN6common25BlockedToStripedShuffleOpEnEvPT3_j
	.p2align	8
	.type	_Z20warp_exchange_kernelILj256ELj16ELj64EN6common25BlockedToStripedShuffleOpEnEvPT3_j,@function
_Z20warp_exchange_kernelILj256ELj16ELj64EN6common25BlockedToStripedShuffleOpEnEvPT3_j: ; @_Z20warp_exchange_kernelILj256ELj16ELj64EN6common25BlockedToStripedShuffleOpEnEvPT3_j
; %bb.0:
	s_endpgm
	.section	.rodata,"a",@progbits
	.p2align	6, 0x0
	.amdhsa_kernel _Z20warp_exchange_kernelILj256ELj16ELj64EN6common25BlockedToStripedShuffleOpEnEvPT3_j
		.amdhsa_group_segment_fixed_size 0
		.amdhsa_private_segment_fixed_size 0
		.amdhsa_kernarg_size 12
		.amdhsa_user_sgpr_count 15
		.amdhsa_user_sgpr_dispatch_ptr 0
		.amdhsa_user_sgpr_queue_ptr 0
		.amdhsa_user_sgpr_kernarg_segment_ptr 1
		.amdhsa_user_sgpr_dispatch_id 0
		.amdhsa_user_sgpr_private_segment_size 0
		.amdhsa_wavefront_size32 1
		.amdhsa_uses_dynamic_stack 0
		.amdhsa_enable_private_segment 0
		.amdhsa_system_sgpr_workgroup_id_x 1
		.amdhsa_system_sgpr_workgroup_id_y 0
		.amdhsa_system_sgpr_workgroup_id_z 0
		.amdhsa_system_sgpr_workgroup_info 0
		.amdhsa_system_vgpr_workitem_id 0
		.amdhsa_next_free_vgpr 1
		.amdhsa_next_free_sgpr 1
		.amdhsa_reserve_vcc 0
		.amdhsa_float_round_mode_32 0
		.amdhsa_float_round_mode_16_64 0
		.amdhsa_float_denorm_mode_32 3
		.amdhsa_float_denorm_mode_16_64 3
		.amdhsa_dx10_clamp 1
		.amdhsa_ieee_mode 1
		.amdhsa_fp16_overflow 0
		.amdhsa_workgroup_processor_mode 1
		.amdhsa_memory_ordered 1
		.amdhsa_forward_progress 0
		.amdhsa_shared_vgpr_count 0
		.amdhsa_exception_fp_ieee_invalid_op 0
		.amdhsa_exception_fp_denorm_src 0
		.amdhsa_exception_fp_ieee_div_zero 0
		.amdhsa_exception_fp_ieee_overflow 0
		.amdhsa_exception_fp_ieee_underflow 0
		.amdhsa_exception_fp_ieee_inexact 0
		.amdhsa_exception_int_div_zero 0
	.end_amdhsa_kernel
	.section	.text._Z20warp_exchange_kernelILj256ELj16ELj64EN6common25BlockedToStripedShuffleOpEnEvPT3_j,"axG",@progbits,_Z20warp_exchange_kernelILj256ELj16ELj64EN6common25BlockedToStripedShuffleOpEnEvPT3_j,comdat
.Lfunc_end121:
	.size	_Z20warp_exchange_kernelILj256ELj16ELj64EN6common25BlockedToStripedShuffleOpEnEvPT3_j, .Lfunc_end121-_Z20warp_exchange_kernelILj256ELj16ELj64EN6common25BlockedToStripedShuffleOpEnEvPT3_j
                                        ; -- End function
	.section	.AMDGPU.csdata,"",@progbits
; Kernel info:
; codeLenInByte = 4
; NumSgprs: 0
; NumVgprs: 0
; ScratchSize: 0
; MemoryBound: 0
; FloatMode: 240
; IeeeMode: 1
; LDSByteSize: 0 bytes/workgroup (compile time only)
; SGPRBlocks: 0
; VGPRBlocks: 0
; NumSGPRsForWavesPerEU: 1
; NumVGPRsForWavesPerEU: 1
; Occupancy: 16
; WaveLimiterHint : 0
; COMPUTE_PGM_RSRC2:SCRATCH_EN: 0
; COMPUTE_PGM_RSRC2:USER_SGPR: 15
; COMPUTE_PGM_RSRC2:TRAP_HANDLER: 0
; COMPUTE_PGM_RSRC2:TGID_X_EN: 1
; COMPUTE_PGM_RSRC2:TGID_Y_EN: 0
; COMPUTE_PGM_RSRC2:TGID_Z_EN: 0
; COMPUTE_PGM_RSRC2:TIDIG_COMP_CNT: 0
	.section	.text._Z20warp_exchange_kernelILj256ELj1ELj64EN6common25StripedToBlockedShuffleOpEnEvPT3_j,"axG",@progbits,_Z20warp_exchange_kernelILj256ELj1ELj64EN6common25StripedToBlockedShuffleOpEnEvPT3_j,comdat
	.protected	_Z20warp_exchange_kernelILj256ELj1ELj64EN6common25StripedToBlockedShuffleOpEnEvPT3_j ; -- Begin function _Z20warp_exchange_kernelILj256ELj1ELj64EN6common25StripedToBlockedShuffleOpEnEvPT3_j
	.globl	_Z20warp_exchange_kernelILj256ELj1ELj64EN6common25StripedToBlockedShuffleOpEnEvPT3_j
	.p2align	8
	.type	_Z20warp_exchange_kernelILj256ELj1ELj64EN6common25StripedToBlockedShuffleOpEnEvPT3_j,@function
_Z20warp_exchange_kernelILj256ELj1ELj64EN6common25StripedToBlockedShuffleOpEnEvPT3_j: ; @_Z20warp_exchange_kernelILj256ELj1ELj64EN6common25StripedToBlockedShuffleOpEnEvPT3_j
; %bb.0:
	s_endpgm
	.section	.rodata,"a",@progbits
	.p2align	6, 0x0
	.amdhsa_kernel _Z20warp_exchange_kernelILj256ELj1ELj64EN6common25StripedToBlockedShuffleOpEnEvPT3_j
		.amdhsa_group_segment_fixed_size 0
		.amdhsa_private_segment_fixed_size 0
		.amdhsa_kernarg_size 12
		.amdhsa_user_sgpr_count 15
		.amdhsa_user_sgpr_dispatch_ptr 0
		.amdhsa_user_sgpr_queue_ptr 0
		.amdhsa_user_sgpr_kernarg_segment_ptr 1
		.amdhsa_user_sgpr_dispatch_id 0
		.amdhsa_user_sgpr_private_segment_size 0
		.amdhsa_wavefront_size32 1
		.amdhsa_uses_dynamic_stack 0
		.amdhsa_enable_private_segment 0
		.amdhsa_system_sgpr_workgroup_id_x 1
		.amdhsa_system_sgpr_workgroup_id_y 0
		.amdhsa_system_sgpr_workgroup_id_z 0
		.amdhsa_system_sgpr_workgroup_info 0
		.amdhsa_system_vgpr_workitem_id 0
		.amdhsa_next_free_vgpr 1
		.amdhsa_next_free_sgpr 1
		.amdhsa_reserve_vcc 0
		.amdhsa_float_round_mode_32 0
		.amdhsa_float_round_mode_16_64 0
		.amdhsa_float_denorm_mode_32 3
		.amdhsa_float_denorm_mode_16_64 3
		.amdhsa_dx10_clamp 1
		.amdhsa_ieee_mode 1
		.amdhsa_fp16_overflow 0
		.amdhsa_workgroup_processor_mode 1
		.amdhsa_memory_ordered 1
		.amdhsa_forward_progress 0
		.amdhsa_shared_vgpr_count 0
		.amdhsa_exception_fp_ieee_invalid_op 0
		.amdhsa_exception_fp_denorm_src 0
		.amdhsa_exception_fp_ieee_div_zero 0
		.amdhsa_exception_fp_ieee_overflow 0
		.amdhsa_exception_fp_ieee_underflow 0
		.amdhsa_exception_fp_ieee_inexact 0
		.amdhsa_exception_int_div_zero 0
	.end_amdhsa_kernel
	.section	.text._Z20warp_exchange_kernelILj256ELj1ELj64EN6common25StripedToBlockedShuffleOpEnEvPT3_j,"axG",@progbits,_Z20warp_exchange_kernelILj256ELj1ELj64EN6common25StripedToBlockedShuffleOpEnEvPT3_j,comdat
.Lfunc_end122:
	.size	_Z20warp_exchange_kernelILj256ELj1ELj64EN6common25StripedToBlockedShuffleOpEnEvPT3_j, .Lfunc_end122-_Z20warp_exchange_kernelILj256ELj1ELj64EN6common25StripedToBlockedShuffleOpEnEvPT3_j
                                        ; -- End function
	.section	.AMDGPU.csdata,"",@progbits
; Kernel info:
; codeLenInByte = 4
; NumSgprs: 0
; NumVgprs: 0
; ScratchSize: 0
; MemoryBound: 0
; FloatMode: 240
; IeeeMode: 1
; LDSByteSize: 0 bytes/workgroup (compile time only)
; SGPRBlocks: 0
; VGPRBlocks: 0
; NumSGPRsForWavesPerEU: 1
; NumVGPRsForWavesPerEU: 1
; Occupancy: 16
; WaveLimiterHint : 0
; COMPUTE_PGM_RSRC2:SCRATCH_EN: 0
; COMPUTE_PGM_RSRC2:USER_SGPR: 15
; COMPUTE_PGM_RSRC2:TRAP_HANDLER: 0
; COMPUTE_PGM_RSRC2:TGID_X_EN: 1
; COMPUTE_PGM_RSRC2:TGID_Y_EN: 0
; COMPUTE_PGM_RSRC2:TGID_Z_EN: 0
; COMPUTE_PGM_RSRC2:TIDIG_COMP_CNT: 0
	.section	.text._Z20warp_exchange_kernelILj256ELj4ELj64EN6common25StripedToBlockedShuffleOpEnEvPT3_j,"axG",@progbits,_Z20warp_exchange_kernelILj256ELj4ELj64EN6common25StripedToBlockedShuffleOpEnEvPT3_j,comdat
	.protected	_Z20warp_exchange_kernelILj256ELj4ELj64EN6common25StripedToBlockedShuffleOpEnEvPT3_j ; -- Begin function _Z20warp_exchange_kernelILj256ELj4ELj64EN6common25StripedToBlockedShuffleOpEnEvPT3_j
	.globl	_Z20warp_exchange_kernelILj256ELj4ELj64EN6common25StripedToBlockedShuffleOpEnEvPT3_j
	.p2align	8
	.type	_Z20warp_exchange_kernelILj256ELj4ELj64EN6common25StripedToBlockedShuffleOpEnEvPT3_j,@function
_Z20warp_exchange_kernelILj256ELj4ELj64EN6common25StripedToBlockedShuffleOpEnEvPT3_j: ; @_Z20warp_exchange_kernelILj256ELj4ELj64EN6common25StripedToBlockedShuffleOpEnEvPT3_j
; %bb.0:
	s_endpgm
	.section	.rodata,"a",@progbits
	.p2align	6, 0x0
	.amdhsa_kernel _Z20warp_exchange_kernelILj256ELj4ELj64EN6common25StripedToBlockedShuffleOpEnEvPT3_j
		.amdhsa_group_segment_fixed_size 0
		.amdhsa_private_segment_fixed_size 0
		.amdhsa_kernarg_size 12
		.amdhsa_user_sgpr_count 15
		.amdhsa_user_sgpr_dispatch_ptr 0
		.amdhsa_user_sgpr_queue_ptr 0
		.amdhsa_user_sgpr_kernarg_segment_ptr 1
		.amdhsa_user_sgpr_dispatch_id 0
		.amdhsa_user_sgpr_private_segment_size 0
		.amdhsa_wavefront_size32 1
		.amdhsa_uses_dynamic_stack 0
		.amdhsa_enable_private_segment 0
		.amdhsa_system_sgpr_workgroup_id_x 1
		.amdhsa_system_sgpr_workgroup_id_y 0
		.amdhsa_system_sgpr_workgroup_id_z 0
		.amdhsa_system_sgpr_workgroup_info 0
		.amdhsa_system_vgpr_workitem_id 0
		.amdhsa_next_free_vgpr 1
		.amdhsa_next_free_sgpr 1
		.amdhsa_reserve_vcc 0
		.amdhsa_float_round_mode_32 0
		.amdhsa_float_round_mode_16_64 0
		.amdhsa_float_denorm_mode_32 3
		.amdhsa_float_denorm_mode_16_64 3
		.amdhsa_dx10_clamp 1
		.amdhsa_ieee_mode 1
		.amdhsa_fp16_overflow 0
		.amdhsa_workgroup_processor_mode 1
		.amdhsa_memory_ordered 1
		.amdhsa_forward_progress 0
		.amdhsa_shared_vgpr_count 0
		.amdhsa_exception_fp_ieee_invalid_op 0
		.amdhsa_exception_fp_denorm_src 0
		.amdhsa_exception_fp_ieee_div_zero 0
		.amdhsa_exception_fp_ieee_overflow 0
		.amdhsa_exception_fp_ieee_underflow 0
		.amdhsa_exception_fp_ieee_inexact 0
		.amdhsa_exception_int_div_zero 0
	.end_amdhsa_kernel
	.section	.text._Z20warp_exchange_kernelILj256ELj4ELj64EN6common25StripedToBlockedShuffleOpEnEvPT3_j,"axG",@progbits,_Z20warp_exchange_kernelILj256ELj4ELj64EN6common25StripedToBlockedShuffleOpEnEvPT3_j,comdat
.Lfunc_end123:
	.size	_Z20warp_exchange_kernelILj256ELj4ELj64EN6common25StripedToBlockedShuffleOpEnEvPT3_j, .Lfunc_end123-_Z20warp_exchange_kernelILj256ELj4ELj64EN6common25StripedToBlockedShuffleOpEnEvPT3_j
                                        ; -- End function
	.section	.AMDGPU.csdata,"",@progbits
; Kernel info:
; codeLenInByte = 4
; NumSgprs: 0
; NumVgprs: 0
; ScratchSize: 0
; MemoryBound: 0
; FloatMode: 240
; IeeeMode: 1
; LDSByteSize: 0 bytes/workgroup (compile time only)
; SGPRBlocks: 0
; VGPRBlocks: 0
; NumSGPRsForWavesPerEU: 1
; NumVGPRsForWavesPerEU: 1
; Occupancy: 16
; WaveLimiterHint : 0
; COMPUTE_PGM_RSRC2:SCRATCH_EN: 0
; COMPUTE_PGM_RSRC2:USER_SGPR: 15
; COMPUTE_PGM_RSRC2:TRAP_HANDLER: 0
; COMPUTE_PGM_RSRC2:TGID_X_EN: 1
; COMPUTE_PGM_RSRC2:TGID_Y_EN: 0
; COMPUTE_PGM_RSRC2:TGID_Z_EN: 0
; COMPUTE_PGM_RSRC2:TIDIG_COMP_CNT: 0
	.section	.text._Z20warp_exchange_kernelILj256ELj16ELj64EN6common25StripedToBlockedShuffleOpEnEvPT3_j,"axG",@progbits,_Z20warp_exchange_kernelILj256ELj16ELj64EN6common25StripedToBlockedShuffleOpEnEvPT3_j,comdat
	.protected	_Z20warp_exchange_kernelILj256ELj16ELj64EN6common25StripedToBlockedShuffleOpEnEvPT3_j ; -- Begin function _Z20warp_exchange_kernelILj256ELj16ELj64EN6common25StripedToBlockedShuffleOpEnEvPT3_j
	.globl	_Z20warp_exchange_kernelILj256ELj16ELj64EN6common25StripedToBlockedShuffleOpEnEvPT3_j
	.p2align	8
	.type	_Z20warp_exchange_kernelILj256ELj16ELj64EN6common25StripedToBlockedShuffleOpEnEvPT3_j,@function
_Z20warp_exchange_kernelILj256ELj16ELj64EN6common25StripedToBlockedShuffleOpEnEvPT3_j: ; @_Z20warp_exchange_kernelILj256ELj16ELj64EN6common25StripedToBlockedShuffleOpEnEvPT3_j
; %bb.0:
	s_endpgm
	.section	.rodata,"a",@progbits
	.p2align	6, 0x0
	.amdhsa_kernel _Z20warp_exchange_kernelILj256ELj16ELj64EN6common25StripedToBlockedShuffleOpEnEvPT3_j
		.amdhsa_group_segment_fixed_size 0
		.amdhsa_private_segment_fixed_size 0
		.amdhsa_kernarg_size 12
		.amdhsa_user_sgpr_count 15
		.amdhsa_user_sgpr_dispatch_ptr 0
		.amdhsa_user_sgpr_queue_ptr 0
		.amdhsa_user_sgpr_kernarg_segment_ptr 1
		.amdhsa_user_sgpr_dispatch_id 0
		.amdhsa_user_sgpr_private_segment_size 0
		.amdhsa_wavefront_size32 1
		.amdhsa_uses_dynamic_stack 0
		.amdhsa_enable_private_segment 0
		.amdhsa_system_sgpr_workgroup_id_x 1
		.amdhsa_system_sgpr_workgroup_id_y 0
		.amdhsa_system_sgpr_workgroup_id_z 0
		.amdhsa_system_sgpr_workgroup_info 0
		.amdhsa_system_vgpr_workitem_id 0
		.amdhsa_next_free_vgpr 1
		.amdhsa_next_free_sgpr 1
		.amdhsa_reserve_vcc 0
		.amdhsa_float_round_mode_32 0
		.amdhsa_float_round_mode_16_64 0
		.amdhsa_float_denorm_mode_32 3
		.amdhsa_float_denorm_mode_16_64 3
		.amdhsa_dx10_clamp 1
		.amdhsa_ieee_mode 1
		.amdhsa_fp16_overflow 0
		.amdhsa_workgroup_processor_mode 1
		.amdhsa_memory_ordered 1
		.amdhsa_forward_progress 0
		.amdhsa_shared_vgpr_count 0
		.amdhsa_exception_fp_ieee_invalid_op 0
		.amdhsa_exception_fp_denorm_src 0
		.amdhsa_exception_fp_ieee_div_zero 0
		.amdhsa_exception_fp_ieee_overflow 0
		.amdhsa_exception_fp_ieee_underflow 0
		.amdhsa_exception_fp_ieee_inexact 0
		.amdhsa_exception_int_div_zero 0
	.end_amdhsa_kernel
	.section	.text._Z20warp_exchange_kernelILj256ELj16ELj64EN6common25StripedToBlockedShuffleOpEnEvPT3_j,"axG",@progbits,_Z20warp_exchange_kernelILj256ELj16ELj64EN6common25StripedToBlockedShuffleOpEnEvPT3_j,comdat
.Lfunc_end124:
	.size	_Z20warp_exchange_kernelILj256ELj16ELj64EN6common25StripedToBlockedShuffleOpEnEvPT3_j, .Lfunc_end124-_Z20warp_exchange_kernelILj256ELj16ELj64EN6common25StripedToBlockedShuffleOpEnEvPT3_j
                                        ; -- End function
	.section	.AMDGPU.csdata,"",@progbits
; Kernel info:
; codeLenInByte = 4
; NumSgprs: 0
; NumVgprs: 0
; ScratchSize: 0
; MemoryBound: 0
; FloatMode: 240
; IeeeMode: 1
; LDSByteSize: 0 bytes/workgroup (compile time only)
; SGPRBlocks: 0
; VGPRBlocks: 0
; NumSGPRsForWavesPerEU: 1
; NumVGPRsForWavesPerEU: 1
; Occupancy: 16
; WaveLimiterHint : 0
; COMPUTE_PGM_RSRC2:SCRATCH_EN: 0
; COMPUTE_PGM_RSRC2:USER_SGPR: 15
; COMPUTE_PGM_RSRC2:TRAP_HANDLER: 0
; COMPUTE_PGM_RSRC2:TGID_X_EN: 1
; COMPUTE_PGM_RSRC2:TGID_Y_EN: 0
; COMPUTE_PGM_RSRC2:TGID_Z_EN: 0
; COMPUTE_PGM_RSRC2:TIDIG_COMP_CNT: 0
	.section	.text._Z20warp_exchange_kernelILj256ELj1ELj64E18ScatterToStripedOpnEvPT3_j,"axG",@progbits,_Z20warp_exchange_kernelILj256ELj1ELj64E18ScatterToStripedOpnEvPT3_j,comdat
	.protected	_Z20warp_exchange_kernelILj256ELj1ELj64E18ScatterToStripedOpnEvPT3_j ; -- Begin function _Z20warp_exchange_kernelILj256ELj1ELj64E18ScatterToStripedOpnEvPT3_j
	.globl	_Z20warp_exchange_kernelILj256ELj1ELj64E18ScatterToStripedOpnEvPT3_j
	.p2align	8
	.type	_Z20warp_exchange_kernelILj256ELj1ELj64E18ScatterToStripedOpnEvPT3_j,@function
_Z20warp_exchange_kernelILj256ELj1ELj64E18ScatterToStripedOpnEvPT3_j: ; @_Z20warp_exchange_kernelILj256ELj1ELj64E18ScatterToStripedOpnEvPT3_j
; %bb.0:
	s_endpgm
	.section	.rodata,"a",@progbits
	.p2align	6, 0x0
	.amdhsa_kernel _Z20warp_exchange_kernelILj256ELj1ELj64E18ScatterToStripedOpnEvPT3_j
		.amdhsa_group_segment_fixed_size 0
		.amdhsa_private_segment_fixed_size 0
		.amdhsa_kernarg_size 12
		.amdhsa_user_sgpr_count 15
		.amdhsa_user_sgpr_dispatch_ptr 0
		.amdhsa_user_sgpr_queue_ptr 0
		.amdhsa_user_sgpr_kernarg_segment_ptr 1
		.amdhsa_user_sgpr_dispatch_id 0
		.amdhsa_user_sgpr_private_segment_size 0
		.amdhsa_wavefront_size32 1
		.amdhsa_uses_dynamic_stack 0
		.amdhsa_enable_private_segment 0
		.amdhsa_system_sgpr_workgroup_id_x 1
		.amdhsa_system_sgpr_workgroup_id_y 0
		.amdhsa_system_sgpr_workgroup_id_z 0
		.amdhsa_system_sgpr_workgroup_info 0
		.amdhsa_system_vgpr_workitem_id 0
		.amdhsa_next_free_vgpr 1
		.amdhsa_next_free_sgpr 1
		.amdhsa_reserve_vcc 0
		.amdhsa_float_round_mode_32 0
		.amdhsa_float_round_mode_16_64 0
		.amdhsa_float_denorm_mode_32 3
		.amdhsa_float_denorm_mode_16_64 3
		.amdhsa_dx10_clamp 1
		.amdhsa_ieee_mode 1
		.amdhsa_fp16_overflow 0
		.amdhsa_workgroup_processor_mode 1
		.amdhsa_memory_ordered 1
		.amdhsa_forward_progress 0
		.amdhsa_shared_vgpr_count 0
		.amdhsa_exception_fp_ieee_invalid_op 0
		.amdhsa_exception_fp_denorm_src 0
		.amdhsa_exception_fp_ieee_div_zero 0
		.amdhsa_exception_fp_ieee_overflow 0
		.amdhsa_exception_fp_ieee_underflow 0
		.amdhsa_exception_fp_ieee_inexact 0
		.amdhsa_exception_int_div_zero 0
	.end_amdhsa_kernel
	.section	.text._Z20warp_exchange_kernelILj256ELj1ELj64E18ScatterToStripedOpnEvPT3_j,"axG",@progbits,_Z20warp_exchange_kernelILj256ELj1ELj64E18ScatterToStripedOpnEvPT3_j,comdat
.Lfunc_end125:
	.size	_Z20warp_exchange_kernelILj256ELj1ELj64E18ScatterToStripedOpnEvPT3_j, .Lfunc_end125-_Z20warp_exchange_kernelILj256ELj1ELj64E18ScatterToStripedOpnEvPT3_j
                                        ; -- End function
	.section	.AMDGPU.csdata,"",@progbits
; Kernel info:
; codeLenInByte = 4
; NumSgprs: 0
; NumVgprs: 0
; ScratchSize: 0
; MemoryBound: 0
; FloatMode: 240
; IeeeMode: 1
; LDSByteSize: 0 bytes/workgroup (compile time only)
; SGPRBlocks: 0
; VGPRBlocks: 0
; NumSGPRsForWavesPerEU: 1
; NumVGPRsForWavesPerEU: 1
; Occupancy: 16
; WaveLimiterHint : 0
; COMPUTE_PGM_RSRC2:SCRATCH_EN: 0
; COMPUTE_PGM_RSRC2:USER_SGPR: 15
; COMPUTE_PGM_RSRC2:TRAP_HANDLER: 0
; COMPUTE_PGM_RSRC2:TGID_X_EN: 1
; COMPUTE_PGM_RSRC2:TGID_Y_EN: 0
; COMPUTE_PGM_RSRC2:TGID_Z_EN: 0
; COMPUTE_PGM_RSRC2:TIDIG_COMP_CNT: 0
	.section	.text._Z20warp_exchange_kernelILj256ELj4ELj64E18ScatterToStripedOpnEvPT3_j,"axG",@progbits,_Z20warp_exchange_kernelILj256ELj4ELj64E18ScatterToStripedOpnEvPT3_j,comdat
	.protected	_Z20warp_exchange_kernelILj256ELj4ELj64E18ScatterToStripedOpnEvPT3_j ; -- Begin function _Z20warp_exchange_kernelILj256ELj4ELj64E18ScatterToStripedOpnEvPT3_j
	.globl	_Z20warp_exchange_kernelILj256ELj4ELj64E18ScatterToStripedOpnEvPT3_j
	.p2align	8
	.type	_Z20warp_exchange_kernelILj256ELj4ELj64E18ScatterToStripedOpnEvPT3_j,@function
_Z20warp_exchange_kernelILj256ELj4ELj64E18ScatterToStripedOpnEvPT3_j: ; @_Z20warp_exchange_kernelILj256ELj4ELj64E18ScatterToStripedOpnEvPT3_j
; %bb.0:
	s_endpgm
	.section	.rodata,"a",@progbits
	.p2align	6, 0x0
	.amdhsa_kernel _Z20warp_exchange_kernelILj256ELj4ELj64E18ScatterToStripedOpnEvPT3_j
		.amdhsa_group_segment_fixed_size 0
		.amdhsa_private_segment_fixed_size 0
		.amdhsa_kernarg_size 12
		.amdhsa_user_sgpr_count 15
		.amdhsa_user_sgpr_dispatch_ptr 0
		.amdhsa_user_sgpr_queue_ptr 0
		.amdhsa_user_sgpr_kernarg_segment_ptr 1
		.amdhsa_user_sgpr_dispatch_id 0
		.amdhsa_user_sgpr_private_segment_size 0
		.amdhsa_wavefront_size32 1
		.amdhsa_uses_dynamic_stack 0
		.amdhsa_enable_private_segment 0
		.amdhsa_system_sgpr_workgroup_id_x 1
		.amdhsa_system_sgpr_workgroup_id_y 0
		.amdhsa_system_sgpr_workgroup_id_z 0
		.amdhsa_system_sgpr_workgroup_info 0
		.amdhsa_system_vgpr_workitem_id 0
		.amdhsa_next_free_vgpr 1
		.amdhsa_next_free_sgpr 1
		.amdhsa_reserve_vcc 0
		.amdhsa_float_round_mode_32 0
		.amdhsa_float_round_mode_16_64 0
		.amdhsa_float_denorm_mode_32 3
		.amdhsa_float_denorm_mode_16_64 3
		.amdhsa_dx10_clamp 1
		.amdhsa_ieee_mode 1
		.amdhsa_fp16_overflow 0
		.amdhsa_workgroup_processor_mode 1
		.amdhsa_memory_ordered 1
		.amdhsa_forward_progress 0
		.amdhsa_shared_vgpr_count 0
		.amdhsa_exception_fp_ieee_invalid_op 0
		.amdhsa_exception_fp_denorm_src 0
		.amdhsa_exception_fp_ieee_div_zero 0
		.amdhsa_exception_fp_ieee_overflow 0
		.amdhsa_exception_fp_ieee_underflow 0
		.amdhsa_exception_fp_ieee_inexact 0
		.amdhsa_exception_int_div_zero 0
	.end_amdhsa_kernel
	.section	.text._Z20warp_exchange_kernelILj256ELj4ELj64E18ScatterToStripedOpnEvPT3_j,"axG",@progbits,_Z20warp_exchange_kernelILj256ELj4ELj64E18ScatterToStripedOpnEvPT3_j,comdat
.Lfunc_end126:
	.size	_Z20warp_exchange_kernelILj256ELj4ELj64E18ScatterToStripedOpnEvPT3_j, .Lfunc_end126-_Z20warp_exchange_kernelILj256ELj4ELj64E18ScatterToStripedOpnEvPT3_j
                                        ; -- End function
	.section	.AMDGPU.csdata,"",@progbits
; Kernel info:
; codeLenInByte = 4
; NumSgprs: 0
; NumVgprs: 0
; ScratchSize: 0
; MemoryBound: 0
; FloatMode: 240
; IeeeMode: 1
; LDSByteSize: 0 bytes/workgroup (compile time only)
; SGPRBlocks: 0
; VGPRBlocks: 0
; NumSGPRsForWavesPerEU: 1
; NumVGPRsForWavesPerEU: 1
; Occupancy: 16
; WaveLimiterHint : 0
; COMPUTE_PGM_RSRC2:SCRATCH_EN: 0
; COMPUTE_PGM_RSRC2:USER_SGPR: 15
; COMPUTE_PGM_RSRC2:TRAP_HANDLER: 0
; COMPUTE_PGM_RSRC2:TGID_X_EN: 1
; COMPUTE_PGM_RSRC2:TGID_Y_EN: 0
; COMPUTE_PGM_RSRC2:TGID_Z_EN: 0
; COMPUTE_PGM_RSRC2:TIDIG_COMP_CNT: 0
	.section	.text._Z20warp_exchange_kernelILj256ELj16ELj64E18ScatterToStripedOpnEvPT3_j,"axG",@progbits,_Z20warp_exchange_kernelILj256ELj16ELj64E18ScatterToStripedOpnEvPT3_j,comdat
	.protected	_Z20warp_exchange_kernelILj256ELj16ELj64E18ScatterToStripedOpnEvPT3_j ; -- Begin function _Z20warp_exchange_kernelILj256ELj16ELj64E18ScatterToStripedOpnEvPT3_j
	.globl	_Z20warp_exchange_kernelILj256ELj16ELj64E18ScatterToStripedOpnEvPT3_j
	.p2align	8
	.type	_Z20warp_exchange_kernelILj256ELj16ELj64E18ScatterToStripedOpnEvPT3_j,@function
_Z20warp_exchange_kernelILj256ELj16ELj64E18ScatterToStripedOpnEvPT3_j: ; @_Z20warp_exchange_kernelILj256ELj16ELj64E18ScatterToStripedOpnEvPT3_j
; %bb.0:
	s_endpgm
	.section	.rodata,"a",@progbits
	.p2align	6, 0x0
	.amdhsa_kernel _Z20warp_exchange_kernelILj256ELj16ELj64E18ScatterToStripedOpnEvPT3_j
		.amdhsa_group_segment_fixed_size 0
		.amdhsa_private_segment_fixed_size 0
		.amdhsa_kernarg_size 12
		.amdhsa_user_sgpr_count 15
		.amdhsa_user_sgpr_dispatch_ptr 0
		.amdhsa_user_sgpr_queue_ptr 0
		.amdhsa_user_sgpr_kernarg_segment_ptr 1
		.amdhsa_user_sgpr_dispatch_id 0
		.amdhsa_user_sgpr_private_segment_size 0
		.amdhsa_wavefront_size32 1
		.amdhsa_uses_dynamic_stack 0
		.amdhsa_enable_private_segment 0
		.amdhsa_system_sgpr_workgroup_id_x 1
		.amdhsa_system_sgpr_workgroup_id_y 0
		.amdhsa_system_sgpr_workgroup_id_z 0
		.amdhsa_system_sgpr_workgroup_info 0
		.amdhsa_system_vgpr_workitem_id 0
		.amdhsa_next_free_vgpr 1
		.amdhsa_next_free_sgpr 1
		.amdhsa_reserve_vcc 0
		.amdhsa_float_round_mode_32 0
		.amdhsa_float_round_mode_16_64 0
		.amdhsa_float_denorm_mode_32 3
		.amdhsa_float_denorm_mode_16_64 3
		.amdhsa_dx10_clamp 1
		.amdhsa_ieee_mode 1
		.amdhsa_fp16_overflow 0
		.amdhsa_workgroup_processor_mode 1
		.amdhsa_memory_ordered 1
		.amdhsa_forward_progress 0
		.amdhsa_shared_vgpr_count 0
		.amdhsa_exception_fp_ieee_invalid_op 0
		.amdhsa_exception_fp_denorm_src 0
		.amdhsa_exception_fp_ieee_div_zero 0
		.amdhsa_exception_fp_ieee_overflow 0
		.amdhsa_exception_fp_ieee_underflow 0
		.amdhsa_exception_fp_ieee_inexact 0
		.amdhsa_exception_int_div_zero 0
	.end_amdhsa_kernel
	.section	.text._Z20warp_exchange_kernelILj256ELj16ELj64E18ScatterToStripedOpnEvPT3_j,"axG",@progbits,_Z20warp_exchange_kernelILj256ELj16ELj64E18ScatterToStripedOpnEvPT3_j,comdat
.Lfunc_end127:
	.size	_Z20warp_exchange_kernelILj256ELj16ELj64E18ScatterToStripedOpnEvPT3_j, .Lfunc_end127-_Z20warp_exchange_kernelILj256ELj16ELj64E18ScatterToStripedOpnEvPT3_j
                                        ; -- End function
	.section	.AMDGPU.csdata,"",@progbits
; Kernel info:
; codeLenInByte = 4
; NumSgprs: 0
; NumVgprs: 0
; ScratchSize: 0
; MemoryBound: 0
; FloatMode: 240
; IeeeMode: 1
; LDSByteSize: 0 bytes/workgroup (compile time only)
; SGPRBlocks: 0
; VGPRBlocks: 0
; NumSGPRsForWavesPerEU: 1
; NumVGPRsForWavesPerEU: 1
; Occupancy: 16
; WaveLimiterHint : 0
; COMPUTE_PGM_RSRC2:SCRATCH_EN: 0
; COMPUTE_PGM_RSRC2:USER_SGPR: 15
; COMPUTE_PGM_RSRC2:TRAP_HANDLER: 0
; COMPUTE_PGM_RSRC2:TGID_X_EN: 1
; COMPUTE_PGM_RSRC2:TGID_Y_EN: 0
; COMPUTE_PGM_RSRC2:TGID_Z_EN: 0
; COMPUTE_PGM_RSRC2:TIDIG_COMP_CNT: 0
	.section	.text._Z20warp_exchange_kernelILj256ELj1ELj64EN6common18BlockedToStripedOpEoEvPT3_j,"axG",@progbits,_Z20warp_exchange_kernelILj256ELj1ELj64EN6common18BlockedToStripedOpEoEvPT3_j,comdat
	.protected	_Z20warp_exchange_kernelILj256ELj1ELj64EN6common18BlockedToStripedOpEoEvPT3_j ; -- Begin function _Z20warp_exchange_kernelILj256ELj1ELj64EN6common18BlockedToStripedOpEoEvPT3_j
	.globl	_Z20warp_exchange_kernelILj256ELj1ELj64EN6common18BlockedToStripedOpEoEvPT3_j
	.p2align	8
	.type	_Z20warp_exchange_kernelILj256ELj1ELj64EN6common18BlockedToStripedOpEoEvPT3_j,@function
_Z20warp_exchange_kernelILj256ELj1ELj64EN6common18BlockedToStripedOpEoEvPT3_j: ; @_Z20warp_exchange_kernelILj256ELj1ELj64EN6common18BlockedToStripedOpEoEvPT3_j
; %bb.0:
	s_endpgm
	.section	.rodata,"a",@progbits
	.p2align	6, 0x0
	.amdhsa_kernel _Z20warp_exchange_kernelILj256ELj1ELj64EN6common18BlockedToStripedOpEoEvPT3_j
		.amdhsa_group_segment_fixed_size 0
		.amdhsa_private_segment_fixed_size 0
		.amdhsa_kernarg_size 12
		.amdhsa_user_sgpr_count 15
		.amdhsa_user_sgpr_dispatch_ptr 0
		.amdhsa_user_sgpr_queue_ptr 0
		.amdhsa_user_sgpr_kernarg_segment_ptr 1
		.amdhsa_user_sgpr_dispatch_id 0
		.amdhsa_user_sgpr_private_segment_size 0
		.amdhsa_wavefront_size32 1
		.amdhsa_uses_dynamic_stack 0
		.amdhsa_enable_private_segment 0
		.amdhsa_system_sgpr_workgroup_id_x 1
		.amdhsa_system_sgpr_workgroup_id_y 0
		.amdhsa_system_sgpr_workgroup_id_z 0
		.amdhsa_system_sgpr_workgroup_info 0
		.amdhsa_system_vgpr_workitem_id 0
		.amdhsa_next_free_vgpr 1
		.amdhsa_next_free_sgpr 1
		.amdhsa_reserve_vcc 0
		.amdhsa_float_round_mode_32 0
		.amdhsa_float_round_mode_16_64 0
		.amdhsa_float_denorm_mode_32 3
		.amdhsa_float_denorm_mode_16_64 3
		.amdhsa_dx10_clamp 1
		.amdhsa_ieee_mode 1
		.amdhsa_fp16_overflow 0
		.amdhsa_workgroup_processor_mode 1
		.amdhsa_memory_ordered 1
		.amdhsa_forward_progress 0
		.amdhsa_shared_vgpr_count 0
		.amdhsa_exception_fp_ieee_invalid_op 0
		.amdhsa_exception_fp_denorm_src 0
		.amdhsa_exception_fp_ieee_div_zero 0
		.amdhsa_exception_fp_ieee_overflow 0
		.amdhsa_exception_fp_ieee_underflow 0
		.amdhsa_exception_fp_ieee_inexact 0
		.amdhsa_exception_int_div_zero 0
	.end_amdhsa_kernel
	.section	.text._Z20warp_exchange_kernelILj256ELj1ELj64EN6common18BlockedToStripedOpEoEvPT3_j,"axG",@progbits,_Z20warp_exchange_kernelILj256ELj1ELj64EN6common18BlockedToStripedOpEoEvPT3_j,comdat
.Lfunc_end128:
	.size	_Z20warp_exchange_kernelILj256ELj1ELj64EN6common18BlockedToStripedOpEoEvPT3_j, .Lfunc_end128-_Z20warp_exchange_kernelILj256ELj1ELj64EN6common18BlockedToStripedOpEoEvPT3_j
                                        ; -- End function
	.section	.AMDGPU.csdata,"",@progbits
; Kernel info:
; codeLenInByte = 4
; NumSgprs: 0
; NumVgprs: 0
; ScratchSize: 0
; MemoryBound: 0
; FloatMode: 240
; IeeeMode: 1
; LDSByteSize: 0 bytes/workgroup (compile time only)
; SGPRBlocks: 0
; VGPRBlocks: 0
; NumSGPRsForWavesPerEU: 1
; NumVGPRsForWavesPerEU: 1
; Occupancy: 16
; WaveLimiterHint : 0
; COMPUTE_PGM_RSRC2:SCRATCH_EN: 0
; COMPUTE_PGM_RSRC2:USER_SGPR: 15
; COMPUTE_PGM_RSRC2:TRAP_HANDLER: 0
; COMPUTE_PGM_RSRC2:TGID_X_EN: 1
; COMPUTE_PGM_RSRC2:TGID_Y_EN: 0
; COMPUTE_PGM_RSRC2:TGID_Z_EN: 0
; COMPUTE_PGM_RSRC2:TIDIG_COMP_CNT: 0
	.section	.text._Z20warp_exchange_kernelILj256ELj4ELj64EN6common18BlockedToStripedOpEoEvPT3_j,"axG",@progbits,_Z20warp_exchange_kernelILj256ELj4ELj64EN6common18BlockedToStripedOpEoEvPT3_j,comdat
	.protected	_Z20warp_exchange_kernelILj256ELj4ELj64EN6common18BlockedToStripedOpEoEvPT3_j ; -- Begin function _Z20warp_exchange_kernelILj256ELj4ELj64EN6common18BlockedToStripedOpEoEvPT3_j
	.globl	_Z20warp_exchange_kernelILj256ELj4ELj64EN6common18BlockedToStripedOpEoEvPT3_j
	.p2align	8
	.type	_Z20warp_exchange_kernelILj256ELj4ELj64EN6common18BlockedToStripedOpEoEvPT3_j,@function
_Z20warp_exchange_kernelILj256ELj4ELj64EN6common18BlockedToStripedOpEoEvPT3_j: ; @_Z20warp_exchange_kernelILj256ELj4ELj64EN6common18BlockedToStripedOpEoEvPT3_j
; %bb.0:
	s_endpgm
	.section	.rodata,"a",@progbits
	.p2align	6, 0x0
	.amdhsa_kernel _Z20warp_exchange_kernelILj256ELj4ELj64EN6common18BlockedToStripedOpEoEvPT3_j
		.amdhsa_group_segment_fixed_size 0
		.amdhsa_private_segment_fixed_size 0
		.amdhsa_kernarg_size 12
		.amdhsa_user_sgpr_count 15
		.amdhsa_user_sgpr_dispatch_ptr 0
		.amdhsa_user_sgpr_queue_ptr 0
		.amdhsa_user_sgpr_kernarg_segment_ptr 1
		.amdhsa_user_sgpr_dispatch_id 0
		.amdhsa_user_sgpr_private_segment_size 0
		.amdhsa_wavefront_size32 1
		.amdhsa_uses_dynamic_stack 0
		.amdhsa_enable_private_segment 0
		.amdhsa_system_sgpr_workgroup_id_x 1
		.amdhsa_system_sgpr_workgroup_id_y 0
		.amdhsa_system_sgpr_workgroup_id_z 0
		.amdhsa_system_sgpr_workgroup_info 0
		.amdhsa_system_vgpr_workitem_id 0
		.amdhsa_next_free_vgpr 1
		.amdhsa_next_free_sgpr 1
		.amdhsa_reserve_vcc 0
		.amdhsa_float_round_mode_32 0
		.amdhsa_float_round_mode_16_64 0
		.amdhsa_float_denorm_mode_32 3
		.amdhsa_float_denorm_mode_16_64 3
		.amdhsa_dx10_clamp 1
		.amdhsa_ieee_mode 1
		.amdhsa_fp16_overflow 0
		.amdhsa_workgroup_processor_mode 1
		.amdhsa_memory_ordered 1
		.amdhsa_forward_progress 0
		.amdhsa_shared_vgpr_count 0
		.amdhsa_exception_fp_ieee_invalid_op 0
		.amdhsa_exception_fp_denorm_src 0
		.amdhsa_exception_fp_ieee_div_zero 0
		.amdhsa_exception_fp_ieee_overflow 0
		.amdhsa_exception_fp_ieee_underflow 0
		.amdhsa_exception_fp_ieee_inexact 0
		.amdhsa_exception_int_div_zero 0
	.end_amdhsa_kernel
	.section	.text._Z20warp_exchange_kernelILj256ELj4ELj64EN6common18BlockedToStripedOpEoEvPT3_j,"axG",@progbits,_Z20warp_exchange_kernelILj256ELj4ELj64EN6common18BlockedToStripedOpEoEvPT3_j,comdat
.Lfunc_end129:
	.size	_Z20warp_exchange_kernelILj256ELj4ELj64EN6common18BlockedToStripedOpEoEvPT3_j, .Lfunc_end129-_Z20warp_exchange_kernelILj256ELj4ELj64EN6common18BlockedToStripedOpEoEvPT3_j
                                        ; -- End function
	.section	.AMDGPU.csdata,"",@progbits
; Kernel info:
; codeLenInByte = 4
; NumSgprs: 0
; NumVgprs: 0
; ScratchSize: 0
; MemoryBound: 0
; FloatMode: 240
; IeeeMode: 1
; LDSByteSize: 0 bytes/workgroup (compile time only)
; SGPRBlocks: 0
; VGPRBlocks: 0
; NumSGPRsForWavesPerEU: 1
; NumVGPRsForWavesPerEU: 1
; Occupancy: 16
; WaveLimiterHint : 0
; COMPUTE_PGM_RSRC2:SCRATCH_EN: 0
; COMPUTE_PGM_RSRC2:USER_SGPR: 15
; COMPUTE_PGM_RSRC2:TRAP_HANDLER: 0
; COMPUTE_PGM_RSRC2:TGID_X_EN: 1
; COMPUTE_PGM_RSRC2:TGID_Y_EN: 0
; COMPUTE_PGM_RSRC2:TGID_Z_EN: 0
; COMPUTE_PGM_RSRC2:TIDIG_COMP_CNT: 0
	.section	.text._Z20warp_exchange_kernelILj256ELj16ELj64EN6common18BlockedToStripedOpEoEvPT3_j,"axG",@progbits,_Z20warp_exchange_kernelILj256ELj16ELj64EN6common18BlockedToStripedOpEoEvPT3_j,comdat
	.protected	_Z20warp_exchange_kernelILj256ELj16ELj64EN6common18BlockedToStripedOpEoEvPT3_j ; -- Begin function _Z20warp_exchange_kernelILj256ELj16ELj64EN6common18BlockedToStripedOpEoEvPT3_j
	.globl	_Z20warp_exchange_kernelILj256ELj16ELj64EN6common18BlockedToStripedOpEoEvPT3_j
	.p2align	8
	.type	_Z20warp_exchange_kernelILj256ELj16ELj64EN6common18BlockedToStripedOpEoEvPT3_j,@function
_Z20warp_exchange_kernelILj256ELj16ELj64EN6common18BlockedToStripedOpEoEvPT3_j: ; @_Z20warp_exchange_kernelILj256ELj16ELj64EN6common18BlockedToStripedOpEoEvPT3_j
; %bb.0:
	s_endpgm
	.section	.rodata,"a",@progbits
	.p2align	6, 0x0
	.amdhsa_kernel _Z20warp_exchange_kernelILj256ELj16ELj64EN6common18BlockedToStripedOpEoEvPT3_j
		.amdhsa_group_segment_fixed_size 0
		.amdhsa_private_segment_fixed_size 0
		.amdhsa_kernarg_size 12
		.amdhsa_user_sgpr_count 15
		.amdhsa_user_sgpr_dispatch_ptr 0
		.amdhsa_user_sgpr_queue_ptr 0
		.amdhsa_user_sgpr_kernarg_segment_ptr 1
		.amdhsa_user_sgpr_dispatch_id 0
		.amdhsa_user_sgpr_private_segment_size 0
		.amdhsa_wavefront_size32 1
		.amdhsa_uses_dynamic_stack 0
		.amdhsa_enable_private_segment 0
		.amdhsa_system_sgpr_workgroup_id_x 1
		.amdhsa_system_sgpr_workgroup_id_y 0
		.amdhsa_system_sgpr_workgroup_id_z 0
		.amdhsa_system_sgpr_workgroup_info 0
		.amdhsa_system_vgpr_workitem_id 0
		.amdhsa_next_free_vgpr 1
		.amdhsa_next_free_sgpr 1
		.amdhsa_reserve_vcc 0
		.amdhsa_float_round_mode_32 0
		.amdhsa_float_round_mode_16_64 0
		.amdhsa_float_denorm_mode_32 3
		.amdhsa_float_denorm_mode_16_64 3
		.amdhsa_dx10_clamp 1
		.amdhsa_ieee_mode 1
		.amdhsa_fp16_overflow 0
		.amdhsa_workgroup_processor_mode 1
		.amdhsa_memory_ordered 1
		.amdhsa_forward_progress 0
		.amdhsa_shared_vgpr_count 0
		.amdhsa_exception_fp_ieee_invalid_op 0
		.amdhsa_exception_fp_denorm_src 0
		.amdhsa_exception_fp_ieee_div_zero 0
		.amdhsa_exception_fp_ieee_overflow 0
		.amdhsa_exception_fp_ieee_underflow 0
		.amdhsa_exception_fp_ieee_inexact 0
		.amdhsa_exception_int_div_zero 0
	.end_amdhsa_kernel
	.section	.text._Z20warp_exchange_kernelILj256ELj16ELj64EN6common18BlockedToStripedOpEoEvPT3_j,"axG",@progbits,_Z20warp_exchange_kernelILj256ELj16ELj64EN6common18BlockedToStripedOpEoEvPT3_j,comdat
.Lfunc_end130:
	.size	_Z20warp_exchange_kernelILj256ELj16ELj64EN6common18BlockedToStripedOpEoEvPT3_j, .Lfunc_end130-_Z20warp_exchange_kernelILj256ELj16ELj64EN6common18BlockedToStripedOpEoEvPT3_j
                                        ; -- End function
	.section	.AMDGPU.csdata,"",@progbits
; Kernel info:
; codeLenInByte = 4
; NumSgprs: 0
; NumVgprs: 0
; ScratchSize: 0
; MemoryBound: 0
; FloatMode: 240
; IeeeMode: 1
; LDSByteSize: 0 bytes/workgroup (compile time only)
; SGPRBlocks: 0
; VGPRBlocks: 0
; NumSGPRsForWavesPerEU: 1
; NumVGPRsForWavesPerEU: 1
; Occupancy: 16
; WaveLimiterHint : 0
; COMPUTE_PGM_RSRC2:SCRATCH_EN: 0
; COMPUTE_PGM_RSRC2:USER_SGPR: 15
; COMPUTE_PGM_RSRC2:TRAP_HANDLER: 0
; COMPUTE_PGM_RSRC2:TGID_X_EN: 1
; COMPUTE_PGM_RSRC2:TGID_Y_EN: 0
; COMPUTE_PGM_RSRC2:TGID_Z_EN: 0
; COMPUTE_PGM_RSRC2:TIDIG_COMP_CNT: 0
	.section	.text._Z20warp_exchange_kernelILj256ELj1ELj64EN6common18StripedToBlockedOpEoEvPT3_j,"axG",@progbits,_Z20warp_exchange_kernelILj256ELj1ELj64EN6common18StripedToBlockedOpEoEvPT3_j,comdat
	.protected	_Z20warp_exchange_kernelILj256ELj1ELj64EN6common18StripedToBlockedOpEoEvPT3_j ; -- Begin function _Z20warp_exchange_kernelILj256ELj1ELj64EN6common18StripedToBlockedOpEoEvPT3_j
	.globl	_Z20warp_exchange_kernelILj256ELj1ELj64EN6common18StripedToBlockedOpEoEvPT3_j
	.p2align	8
	.type	_Z20warp_exchange_kernelILj256ELj1ELj64EN6common18StripedToBlockedOpEoEvPT3_j,@function
_Z20warp_exchange_kernelILj256ELj1ELj64EN6common18StripedToBlockedOpEoEvPT3_j: ; @_Z20warp_exchange_kernelILj256ELj1ELj64EN6common18StripedToBlockedOpEoEvPT3_j
; %bb.0:
	s_endpgm
	.section	.rodata,"a",@progbits
	.p2align	6, 0x0
	.amdhsa_kernel _Z20warp_exchange_kernelILj256ELj1ELj64EN6common18StripedToBlockedOpEoEvPT3_j
		.amdhsa_group_segment_fixed_size 0
		.amdhsa_private_segment_fixed_size 0
		.amdhsa_kernarg_size 12
		.amdhsa_user_sgpr_count 15
		.amdhsa_user_sgpr_dispatch_ptr 0
		.amdhsa_user_sgpr_queue_ptr 0
		.amdhsa_user_sgpr_kernarg_segment_ptr 1
		.amdhsa_user_sgpr_dispatch_id 0
		.amdhsa_user_sgpr_private_segment_size 0
		.amdhsa_wavefront_size32 1
		.amdhsa_uses_dynamic_stack 0
		.amdhsa_enable_private_segment 0
		.amdhsa_system_sgpr_workgroup_id_x 1
		.amdhsa_system_sgpr_workgroup_id_y 0
		.amdhsa_system_sgpr_workgroup_id_z 0
		.amdhsa_system_sgpr_workgroup_info 0
		.amdhsa_system_vgpr_workitem_id 0
		.amdhsa_next_free_vgpr 1
		.amdhsa_next_free_sgpr 1
		.amdhsa_reserve_vcc 0
		.amdhsa_float_round_mode_32 0
		.amdhsa_float_round_mode_16_64 0
		.amdhsa_float_denorm_mode_32 3
		.amdhsa_float_denorm_mode_16_64 3
		.amdhsa_dx10_clamp 1
		.amdhsa_ieee_mode 1
		.amdhsa_fp16_overflow 0
		.amdhsa_workgroup_processor_mode 1
		.amdhsa_memory_ordered 1
		.amdhsa_forward_progress 0
		.amdhsa_shared_vgpr_count 0
		.amdhsa_exception_fp_ieee_invalid_op 0
		.amdhsa_exception_fp_denorm_src 0
		.amdhsa_exception_fp_ieee_div_zero 0
		.amdhsa_exception_fp_ieee_overflow 0
		.amdhsa_exception_fp_ieee_underflow 0
		.amdhsa_exception_fp_ieee_inexact 0
		.amdhsa_exception_int_div_zero 0
	.end_amdhsa_kernel
	.section	.text._Z20warp_exchange_kernelILj256ELj1ELj64EN6common18StripedToBlockedOpEoEvPT3_j,"axG",@progbits,_Z20warp_exchange_kernelILj256ELj1ELj64EN6common18StripedToBlockedOpEoEvPT3_j,comdat
.Lfunc_end131:
	.size	_Z20warp_exchange_kernelILj256ELj1ELj64EN6common18StripedToBlockedOpEoEvPT3_j, .Lfunc_end131-_Z20warp_exchange_kernelILj256ELj1ELj64EN6common18StripedToBlockedOpEoEvPT3_j
                                        ; -- End function
	.section	.AMDGPU.csdata,"",@progbits
; Kernel info:
; codeLenInByte = 4
; NumSgprs: 0
; NumVgprs: 0
; ScratchSize: 0
; MemoryBound: 0
; FloatMode: 240
; IeeeMode: 1
; LDSByteSize: 0 bytes/workgroup (compile time only)
; SGPRBlocks: 0
; VGPRBlocks: 0
; NumSGPRsForWavesPerEU: 1
; NumVGPRsForWavesPerEU: 1
; Occupancy: 16
; WaveLimiterHint : 0
; COMPUTE_PGM_RSRC2:SCRATCH_EN: 0
; COMPUTE_PGM_RSRC2:USER_SGPR: 15
; COMPUTE_PGM_RSRC2:TRAP_HANDLER: 0
; COMPUTE_PGM_RSRC2:TGID_X_EN: 1
; COMPUTE_PGM_RSRC2:TGID_Y_EN: 0
; COMPUTE_PGM_RSRC2:TGID_Z_EN: 0
; COMPUTE_PGM_RSRC2:TIDIG_COMP_CNT: 0
	.section	.text._Z20warp_exchange_kernelILj256ELj4ELj64EN6common18StripedToBlockedOpEoEvPT3_j,"axG",@progbits,_Z20warp_exchange_kernelILj256ELj4ELj64EN6common18StripedToBlockedOpEoEvPT3_j,comdat
	.protected	_Z20warp_exchange_kernelILj256ELj4ELj64EN6common18StripedToBlockedOpEoEvPT3_j ; -- Begin function _Z20warp_exchange_kernelILj256ELj4ELj64EN6common18StripedToBlockedOpEoEvPT3_j
	.globl	_Z20warp_exchange_kernelILj256ELj4ELj64EN6common18StripedToBlockedOpEoEvPT3_j
	.p2align	8
	.type	_Z20warp_exchange_kernelILj256ELj4ELj64EN6common18StripedToBlockedOpEoEvPT3_j,@function
_Z20warp_exchange_kernelILj256ELj4ELj64EN6common18StripedToBlockedOpEoEvPT3_j: ; @_Z20warp_exchange_kernelILj256ELj4ELj64EN6common18StripedToBlockedOpEoEvPT3_j
; %bb.0:
	s_endpgm
	.section	.rodata,"a",@progbits
	.p2align	6, 0x0
	.amdhsa_kernel _Z20warp_exchange_kernelILj256ELj4ELj64EN6common18StripedToBlockedOpEoEvPT3_j
		.amdhsa_group_segment_fixed_size 0
		.amdhsa_private_segment_fixed_size 0
		.amdhsa_kernarg_size 12
		.amdhsa_user_sgpr_count 15
		.amdhsa_user_sgpr_dispatch_ptr 0
		.amdhsa_user_sgpr_queue_ptr 0
		.amdhsa_user_sgpr_kernarg_segment_ptr 1
		.amdhsa_user_sgpr_dispatch_id 0
		.amdhsa_user_sgpr_private_segment_size 0
		.amdhsa_wavefront_size32 1
		.amdhsa_uses_dynamic_stack 0
		.amdhsa_enable_private_segment 0
		.amdhsa_system_sgpr_workgroup_id_x 1
		.amdhsa_system_sgpr_workgroup_id_y 0
		.amdhsa_system_sgpr_workgroup_id_z 0
		.amdhsa_system_sgpr_workgroup_info 0
		.amdhsa_system_vgpr_workitem_id 0
		.amdhsa_next_free_vgpr 1
		.amdhsa_next_free_sgpr 1
		.amdhsa_reserve_vcc 0
		.amdhsa_float_round_mode_32 0
		.amdhsa_float_round_mode_16_64 0
		.amdhsa_float_denorm_mode_32 3
		.amdhsa_float_denorm_mode_16_64 3
		.amdhsa_dx10_clamp 1
		.amdhsa_ieee_mode 1
		.amdhsa_fp16_overflow 0
		.amdhsa_workgroup_processor_mode 1
		.amdhsa_memory_ordered 1
		.amdhsa_forward_progress 0
		.amdhsa_shared_vgpr_count 0
		.amdhsa_exception_fp_ieee_invalid_op 0
		.amdhsa_exception_fp_denorm_src 0
		.amdhsa_exception_fp_ieee_div_zero 0
		.amdhsa_exception_fp_ieee_overflow 0
		.amdhsa_exception_fp_ieee_underflow 0
		.amdhsa_exception_fp_ieee_inexact 0
		.amdhsa_exception_int_div_zero 0
	.end_amdhsa_kernel
	.section	.text._Z20warp_exchange_kernelILj256ELj4ELj64EN6common18StripedToBlockedOpEoEvPT3_j,"axG",@progbits,_Z20warp_exchange_kernelILj256ELj4ELj64EN6common18StripedToBlockedOpEoEvPT3_j,comdat
.Lfunc_end132:
	.size	_Z20warp_exchange_kernelILj256ELj4ELj64EN6common18StripedToBlockedOpEoEvPT3_j, .Lfunc_end132-_Z20warp_exchange_kernelILj256ELj4ELj64EN6common18StripedToBlockedOpEoEvPT3_j
                                        ; -- End function
	.section	.AMDGPU.csdata,"",@progbits
; Kernel info:
; codeLenInByte = 4
; NumSgprs: 0
; NumVgprs: 0
; ScratchSize: 0
; MemoryBound: 0
; FloatMode: 240
; IeeeMode: 1
; LDSByteSize: 0 bytes/workgroup (compile time only)
; SGPRBlocks: 0
; VGPRBlocks: 0
; NumSGPRsForWavesPerEU: 1
; NumVGPRsForWavesPerEU: 1
; Occupancy: 16
; WaveLimiterHint : 0
; COMPUTE_PGM_RSRC2:SCRATCH_EN: 0
; COMPUTE_PGM_RSRC2:USER_SGPR: 15
; COMPUTE_PGM_RSRC2:TRAP_HANDLER: 0
; COMPUTE_PGM_RSRC2:TGID_X_EN: 1
; COMPUTE_PGM_RSRC2:TGID_Y_EN: 0
; COMPUTE_PGM_RSRC2:TGID_Z_EN: 0
; COMPUTE_PGM_RSRC2:TIDIG_COMP_CNT: 0
	.section	.text._Z20warp_exchange_kernelILj256ELj16ELj64EN6common18StripedToBlockedOpEoEvPT3_j,"axG",@progbits,_Z20warp_exchange_kernelILj256ELj16ELj64EN6common18StripedToBlockedOpEoEvPT3_j,comdat
	.protected	_Z20warp_exchange_kernelILj256ELj16ELj64EN6common18StripedToBlockedOpEoEvPT3_j ; -- Begin function _Z20warp_exchange_kernelILj256ELj16ELj64EN6common18StripedToBlockedOpEoEvPT3_j
	.globl	_Z20warp_exchange_kernelILj256ELj16ELj64EN6common18StripedToBlockedOpEoEvPT3_j
	.p2align	8
	.type	_Z20warp_exchange_kernelILj256ELj16ELj64EN6common18StripedToBlockedOpEoEvPT3_j,@function
_Z20warp_exchange_kernelILj256ELj16ELj64EN6common18StripedToBlockedOpEoEvPT3_j: ; @_Z20warp_exchange_kernelILj256ELj16ELj64EN6common18StripedToBlockedOpEoEvPT3_j
; %bb.0:
	s_endpgm
	.section	.rodata,"a",@progbits
	.p2align	6, 0x0
	.amdhsa_kernel _Z20warp_exchange_kernelILj256ELj16ELj64EN6common18StripedToBlockedOpEoEvPT3_j
		.amdhsa_group_segment_fixed_size 0
		.amdhsa_private_segment_fixed_size 0
		.amdhsa_kernarg_size 12
		.amdhsa_user_sgpr_count 15
		.amdhsa_user_sgpr_dispatch_ptr 0
		.amdhsa_user_sgpr_queue_ptr 0
		.amdhsa_user_sgpr_kernarg_segment_ptr 1
		.amdhsa_user_sgpr_dispatch_id 0
		.amdhsa_user_sgpr_private_segment_size 0
		.amdhsa_wavefront_size32 1
		.amdhsa_uses_dynamic_stack 0
		.amdhsa_enable_private_segment 0
		.amdhsa_system_sgpr_workgroup_id_x 1
		.amdhsa_system_sgpr_workgroup_id_y 0
		.amdhsa_system_sgpr_workgroup_id_z 0
		.amdhsa_system_sgpr_workgroup_info 0
		.amdhsa_system_vgpr_workitem_id 0
		.amdhsa_next_free_vgpr 1
		.amdhsa_next_free_sgpr 1
		.amdhsa_reserve_vcc 0
		.amdhsa_float_round_mode_32 0
		.amdhsa_float_round_mode_16_64 0
		.amdhsa_float_denorm_mode_32 3
		.amdhsa_float_denorm_mode_16_64 3
		.amdhsa_dx10_clamp 1
		.amdhsa_ieee_mode 1
		.amdhsa_fp16_overflow 0
		.amdhsa_workgroup_processor_mode 1
		.amdhsa_memory_ordered 1
		.amdhsa_forward_progress 0
		.amdhsa_shared_vgpr_count 0
		.amdhsa_exception_fp_ieee_invalid_op 0
		.amdhsa_exception_fp_denorm_src 0
		.amdhsa_exception_fp_ieee_div_zero 0
		.amdhsa_exception_fp_ieee_overflow 0
		.amdhsa_exception_fp_ieee_underflow 0
		.amdhsa_exception_fp_ieee_inexact 0
		.amdhsa_exception_int_div_zero 0
	.end_amdhsa_kernel
	.section	.text._Z20warp_exchange_kernelILj256ELj16ELj64EN6common18StripedToBlockedOpEoEvPT3_j,"axG",@progbits,_Z20warp_exchange_kernelILj256ELj16ELj64EN6common18StripedToBlockedOpEoEvPT3_j,comdat
.Lfunc_end133:
	.size	_Z20warp_exchange_kernelILj256ELj16ELj64EN6common18StripedToBlockedOpEoEvPT3_j, .Lfunc_end133-_Z20warp_exchange_kernelILj256ELj16ELj64EN6common18StripedToBlockedOpEoEvPT3_j
                                        ; -- End function
	.section	.AMDGPU.csdata,"",@progbits
; Kernel info:
; codeLenInByte = 4
; NumSgprs: 0
; NumVgprs: 0
; ScratchSize: 0
; MemoryBound: 0
; FloatMode: 240
; IeeeMode: 1
; LDSByteSize: 0 bytes/workgroup (compile time only)
; SGPRBlocks: 0
; VGPRBlocks: 0
; NumSGPRsForWavesPerEU: 1
; NumVGPRsForWavesPerEU: 1
; Occupancy: 16
; WaveLimiterHint : 0
; COMPUTE_PGM_RSRC2:SCRATCH_EN: 0
; COMPUTE_PGM_RSRC2:USER_SGPR: 15
; COMPUTE_PGM_RSRC2:TRAP_HANDLER: 0
; COMPUTE_PGM_RSRC2:TGID_X_EN: 1
; COMPUTE_PGM_RSRC2:TGID_Y_EN: 0
; COMPUTE_PGM_RSRC2:TGID_Z_EN: 0
; COMPUTE_PGM_RSRC2:TIDIG_COMP_CNT: 0
	.section	.text._Z20warp_exchange_kernelILj256ELj1ELj64EN6common25BlockedToStripedShuffleOpEoEvPT3_j,"axG",@progbits,_Z20warp_exchange_kernelILj256ELj1ELj64EN6common25BlockedToStripedShuffleOpEoEvPT3_j,comdat
	.protected	_Z20warp_exchange_kernelILj256ELj1ELj64EN6common25BlockedToStripedShuffleOpEoEvPT3_j ; -- Begin function _Z20warp_exchange_kernelILj256ELj1ELj64EN6common25BlockedToStripedShuffleOpEoEvPT3_j
	.globl	_Z20warp_exchange_kernelILj256ELj1ELj64EN6common25BlockedToStripedShuffleOpEoEvPT3_j
	.p2align	8
	.type	_Z20warp_exchange_kernelILj256ELj1ELj64EN6common25BlockedToStripedShuffleOpEoEvPT3_j,@function
_Z20warp_exchange_kernelILj256ELj1ELj64EN6common25BlockedToStripedShuffleOpEoEvPT3_j: ; @_Z20warp_exchange_kernelILj256ELj1ELj64EN6common25BlockedToStripedShuffleOpEoEvPT3_j
; %bb.0:
	s_endpgm
	.section	.rodata,"a",@progbits
	.p2align	6, 0x0
	.amdhsa_kernel _Z20warp_exchange_kernelILj256ELj1ELj64EN6common25BlockedToStripedShuffleOpEoEvPT3_j
		.amdhsa_group_segment_fixed_size 0
		.amdhsa_private_segment_fixed_size 0
		.amdhsa_kernarg_size 12
		.amdhsa_user_sgpr_count 15
		.amdhsa_user_sgpr_dispatch_ptr 0
		.amdhsa_user_sgpr_queue_ptr 0
		.amdhsa_user_sgpr_kernarg_segment_ptr 1
		.amdhsa_user_sgpr_dispatch_id 0
		.amdhsa_user_sgpr_private_segment_size 0
		.amdhsa_wavefront_size32 1
		.amdhsa_uses_dynamic_stack 0
		.amdhsa_enable_private_segment 0
		.amdhsa_system_sgpr_workgroup_id_x 1
		.amdhsa_system_sgpr_workgroup_id_y 0
		.amdhsa_system_sgpr_workgroup_id_z 0
		.amdhsa_system_sgpr_workgroup_info 0
		.amdhsa_system_vgpr_workitem_id 0
		.amdhsa_next_free_vgpr 1
		.amdhsa_next_free_sgpr 1
		.amdhsa_reserve_vcc 0
		.amdhsa_float_round_mode_32 0
		.amdhsa_float_round_mode_16_64 0
		.amdhsa_float_denorm_mode_32 3
		.amdhsa_float_denorm_mode_16_64 3
		.amdhsa_dx10_clamp 1
		.amdhsa_ieee_mode 1
		.amdhsa_fp16_overflow 0
		.amdhsa_workgroup_processor_mode 1
		.amdhsa_memory_ordered 1
		.amdhsa_forward_progress 0
		.amdhsa_shared_vgpr_count 0
		.amdhsa_exception_fp_ieee_invalid_op 0
		.amdhsa_exception_fp_denorm_src 0
		.amdhsa_exception_fp_ieee_div_zero 0
		.amdhsa_exception_fp_ieee_overflow 0
		.amdhsa_exception_fp_ieee_underflow 0
		.amdhsa_exception_fp_ieee_inexact 0
		.amdhsa_exception_int_div_zero 0
	.end_amdhsa_kernel
	.section	.text._Z20warp_exchange_kernelILj256ELj1ELj64EN6common25BlockedToStripedShuffleOpEoEvPT3_j,"axG",@progbits,_Z20warp_exchange_kernelILj256ELj1ELj64EN6common25BlockedToStripedShuffleOpEoEvPT3_j,comdat
.Lfunc_end134:
	.size	_Z20warp_exchange_kernelILj256ELj1ELj64EN6common25BlockedToStripedShuffleOpEoEvPT3_j, .Lfunc_end134-_Z20warp_exchange_kernelILj256ELj1ELj64EN6common25BlockedToStripedShuffleOpEoEvPT3_j
                                        ; -- End function
	.section	.AMDGPU.csdata,"",@progbits
; Kernel info:
; codeLenInByte = 4
; NumSgprs: 0
; NumVgprs: 0
; ScratchSize: 0
; MemoryBound: 0
; FloatMode: 240
; IeeeMode: 1
; LDSByteSize: 0 bytes/workgroup (compile time only)
; SGPRBlocks: 0
; VGPRBlocks: 0
; NumSGPRsForWavesPerEU: 1
; NumVGPRsForWavesPerEU: 1
; Occupancy: 16
; WaveLimiterHint : 0
; COMPUTE_PGM_RSRC2:SCRATCH_EN: 0
; COMPUTE_PGM_RSRC2:USER_SGPR: 15
; COMPUTE_PGM_RSRC2:TRAP_HANDLER: 0
; COMPUTE_PGM_RSRC2:TGID_X_EN: 1
; COMPUTE_PGM_RSRC2:TGID_Y_EN: 0
; COMPUTE_PGM_RSRC2:TGID_Z_EN: 0
; COMPUTE_PGM_RSRC2:TIDIG_COMP_CNT: 0
	.section	.text._Z20warp_exchange_kernelILj256ELj4ELj64EN6common25BlockedToStripedShuffleOpEoEvPT3_j,"axG",@progbits,_Z20warp_exchange_kernelILj256ELj4ELj64EN6common25BlockedToStripedShuffleOpEoEvPT3_j,comdat
	.protected	_Z20warp_exchange_kernelILj256ELj4ELj64EN6common25BlockedToStripedShuffleOpEoEvPT3_j ; -- Begin function _Z20warp_exchange_kernelILj256ELj4ELj64EN6common25BlockedToStripedShuffleOpEoEvPT3_j
	.globl	_Z20warp_exchange_kernelILj256ELj4ELj64EN6common25BlockedToStripedShuffleOpEoEvPT3_j
	.p2align	8
	.type	_Z20warp_exchange_kernelILj256ELj4ELj64EN6common25BlockedToStripedShuffleOpEoEvPT3_j,@function
_Z20warp_exchange_kernelILj256ELj4ELj64EN6common25BlockedToStripedShuffleOpEoEvPT3_j: ; @_Z20warp_exchange_kernelILj256ELj4ELj64EN6common25BlockedToStripedShuffleOpEoEvPT3_j
; %bb.0:
	s_endpgm
	.section	.rodata,"a",@progbits
	.p2align	6, 0x0
	.amdhsa_kernel _Z20warp_exchange_kernelILj256ELj4ELj64EN6common25BlockedToStripedShuffleOpEoEvPT3_j
		.amdhsa_group_segment_fixed_size 0
		.amdhsa_private_segment_fixed_size 0
		.amdhsa_kernarg_size 12
		.amdhsa_user_sgpr_count 15
		.amdhsa_user_sgpr_dispatch_ptr 0
		.amdhsa_user_sgpr_queue_ptr 0
		.amdhsa_user_sgpr_kernarg_segment_ptr 1
		.amdhsa_user_sgpr_dispatch_id 0
		.amdhsa_user_sgpr_private_segment_size 0
		.amdhsa_wavefront_size32 1
		.amdhsa_uses_dynamic_stack 0
		.amdhsa_enable_private_segment 0
		.amdhsa_system_sgpr_workgroup_id_x 1
		.amdhsa_system_sgpr_workgroup_id_y 0
		.amdhsa_system_sgpr_workgroup_id_z 0
		.amdhsa_system_sgpr_workgroup_info 0
		.amdhsa_system_vgpr_workitem_id 0
		.amdhsa_next_free_vgpr 1
		.amdhsa_next_free_sgpr 1
		.amdhsa_reserve_vcc 0
		.amdhsa_float_round_mode_32 0
		.amdhsa_float_round_mode_16_64 0
		.amdhsa_float_denorm_mode_32 3
		.amdhsa_float_denorm_mode_16_64 3
		.amdhsa_dx10_clamp 1
		.amdhsa_ieee_mode 1
		.amdhsa_fp16_overflow 0
		.amdhsa_workgroup_processor_mode 1
		.amdhsa_memory_ordered 1
		.amdhsa_forward_progress 0
		.amdhsa_shared_vgpr_count 0
		.amdhsa_exception_fp_ieee_invalid_op 0
		.amdhsa_exception_fp_denorm_src 0
		.amdhsa_exception_fp_ieee_div_zero 0
		.amdhsa_exception_fp_ieee_overflow 0
		.amdhsa_exception_fp_ieee_underflow 0
		.amdhsa_exception_fp_ieee_inexact 0
		.amdhsa_exception_int_div_zero 0
	.end_amdhsa_kernel
	.section	.text._Z20warp_exchange_kernelILj256ELj4ELj64EN6common25BlockedToStripedShuffleOpEoEvPT3_j,"axG",@progbits,_Z20warp_exchange_kernelILj256ELj4ELj64EN6common25BlockedToStripedShuffleOpEoEvPT3_j,comdat
.Lfunc_end135:
	.size	_Z20warp_exchange_kernelILj256ELj4ELj64EN6common25BlockedToStripedShuffleOpEoEvPT3_j, .Lfunc_end135-_Z20warp_exchange_kernelILj256ELj4ELj64EN6common25BlockedToStripedShuffleOpEoEvPT3_j
                                        ; -- End function
	.section	.AMDGPU.csdata,"",@progbits
; Kernel info:
; codeLenInByte = 4
; NumSgprs: 0
; NumVgprs: 0
; ScratchSize: 0
; MemoryBound: 0
; FloatMode: 240
; IeeeMode: 1
; LDSByteSize: 0 bytes/workgroup (compile time only)
; SGPRBlocks: 0
; VGPRBlocks: 0
; NumSGPRsForWavesPerEU: 1
; NumVGPRsForWavesPerEU: 1
; Occupancy: 16
; WaveLimiterHint : 0
; COMPUTE_PGM_RSRC2:SCRATCH_EN: 0
; COMPUTE_PGM_RSRC2:USER_SGPR: 15
; COMPUTE_PGM_RSRC2:TRAP_HANDLER: 0
; COMPUTE_PGM_RSRC2:TGID_X_EN: 1
; COMPUTE_PGM_RSRC2:TGID_Y_EN: 0
; COMPUTE_PGM_RSRC2:TGID_Z_EN: 0
; COMPUTE_PGM_RSRC2:TIDIG_COMP_CNT: 0
	.section	.text._Z20warp_exchange_kernelILj256ELj16ELj64EN6common25BlockedToStripedShuffleOpEoEvPT3_j,"axG",@progbits,_Z20warp_exchange_kernelILj256ELj16ELj64EN6common25BlockedToStripedShuffleOpEoEvPT3_j,comdat
	.protected	_Z20warp_exchange_kernelILj256ELj16ELj64EN6common25BlockedToStripedShuffleOpEoEvPT3_j ; -- Begin function _Z20warp_exchange_kernelILj256ELj16ELj64EN6common25BlockedToStripedShuffleOpEoEvPT3_j
	.globl	_Z20warp_exchange_kernelILj256ELj16ELj64EN6common25BlockedToStripedShuffleOpEoEvPT3_j
	.p2align	8
	.type	_Z20warp_exchange_kernelILj256ELj16ELj64EN6common25BlockedToStripedShuffleOpEoEvPT3_j,@function
_Z20warp_exchange_kernelILj256ELj16ELj64EN6common25BlockedToStripedShuffleOpEoEvPT3_j: ; @_Z20warp_exchange_kernelILj256ELj16ELj64EN6common25BlockedToStripedShuffleOpEoEvPT3_j
; %bb.0:
	s_endpgm
	.section	.rodata,"a",@progbits
	.p2align	6, 0x0
	.amdhsa_kernel _Z20warp_exchange_kernelILj256ELj16ELj64EN6common25BlockedToStripedShuffleOpEoEvPT3_j
		.amdhsa_group_segment_fixed_size 0
		.amdhsa_private_segment_fixed_size 0
		.amdhsa_kernarg_size 12
		.amdhsa_user_sgpr_count 15
		.amdhsa_user_sgpr_dispatch_ptr 0
		.amdhsa_user_sgpr_queue_ptr 0
		.amdhsa_user_sgpr_kernarg_segment_ptr 1
		.amdhsa_user_sgpr_dispatch_id 0
		.amdhsa_user_sgpr_private_segment_size 0
		.amdhsa_wavefront_size32 1
		.amdhsa_uses_dynamic_stack 0
		.amdhsa_enable_private_segment 0
		.amdhsa_system_sgpr_workgroup_id_x 1
		.amdhsa_system_sgpr_workgroup_id_y 0
		.amdhsa_system_sgpr_workgroup_id_z 0
		.amdhsa_system_sgpr_workgroup_info 0
		.amdhsa_system_vgpr_workitem_id 0
		.amdhsa_next_free_vgpr 1
		.amdhsa_next_free_sgpr 1
		.amdhsa_reserve_vcc 0
		.amdhsa_float_round_mode_32 0
		.amdhsa_float_round_mode_16_64 0
		.amdhsa_float_denorm_mode_32 3
		.amdhsa_float_denorm_mode_16_64 3
		.amdhsa_dx10_clamp 1
		.amdhsa_ieee_mode 1
		.amdhsa_fp16_overflow 0
		.amdhsa_workgroup_processor_mode 1
		.amdhsa_memory_ordered 1
		.amdhsa_forward_progress 0
		.amdhsa_shared_vgpr_count 0
		.amdhsa_exception_fp_ieee_invalid_op 0
		.amdhsa_exception_fp_denorm_src 0
		.amdhsa_exception_fp_ieee_div_zero 0
		.amdhsa_exception_fp_ieee_overflow 0
		.amdhsa_exception_fp_ieee_underflow 0
		.amdhsa_exception_fp_ieee_inexact 0
		.amdhsa_exception_int_div_zero 0
	.end_amdhsa_kernel
	.section	.text._Z20warp_exchange_kernelILj256ELj16ELj64EN6common25BlockedToStripedShuffleOpEoEvPT3_j,"axG",@progbits,_Z20warp_exchange_kernelILj256ELj16ELj64EN6common25BlockedToStripedShuffleOpEoEvPT3_j,comdat
.Lfunc_end136:
	.size	_Z20warp_exchange_kernelILj256ELj16ELj64EN6common25BlockedToStripedShuffleOpEoEvPT3_j, .Lfunc_end136-_Z20warp_exchange_kernelILj256ELj16ELj64EN6common25BlockedToStripedShuffleOpEoEvPT3_j
                                        ; -- End function
	.section	.AMDGPU.csdata,"",@progbits
; Kernel info:
; codeLenInByte = 4
; NumSgprs: 0
; NumVgprs: 0
; ScratchSize: 0
; MemoryBound: 0
; FloatMode: 240
; IeeeMode: 1
; LDSByteSize: 0 bytes/workgroup (compile time only)
; SGPRBlocks: 0
; VGPRBlocks: 0
; NumSGPRsForWavesPerEU: 1
; NumVGPRsForWavesPerEU: 1
; Occupancy: 16
; WaveLimiterHint : 0
; COMPUTE_PGM_RSRC2:SCRATCH_EN: 0
; COMPUTE_PGM_RSRC2:USER_SGPR: 15
; COMPUTE_PGM_RSRC2:TRAP_HANDLER: 0
; COMPUTE_PGM_RSRC2:TGID_X_EN: 1
; COMPUTE_PGM_RSRC2:TGID_Y_EN: 0
; COMPUTE_PGM_RSRC2:TGID_Z_EN: 0
; COMPUTE_PGM_RSRC2:TIDIG_COMP_CNT: 0
	.section	.text._Z20warp_exchange_kernelILj256ELj1ELj64EN6common25StripedToBlockedShuffleOpEoEvPT3_j,"axG",@progbits,_Z20warp_exchange_kernelILj256ELj1ELj64EN6common25StripedToBlockedShuffleOpEoEvPT3_j,comdat
	.protected	_Z20warp_exchange_kernelILj256ELj1ELj64EN6common25StripedToBlockedShuffleOpEoEvPT3_j ; -- Begin function _Z20warp_exchange_kernelILj256ELj1ELj64EN6common25StripedToBlockedShuffleOpEoEvPT3_j
	.globl	_Z20warp_exchange_kernelILj256ELj1ELj64EN6common25StripedToBlockedShuffleOpEoEvPT3_j
	.p2align	8
	.type	_Z20warp_exchange_kernelILj256ELj1ELj64EN6common25StripedToBlockedShuffleOpEoEvPT3_j,@function
_Z20warp_exchange_kernelILj256ELj1ELj64EN6common25StripedToBlockedShuffleOpEoEvPT3_j: ; @_Z20warp_exchange_kernelILj256ELj1ELj64EN6common25StripedToBlockedShuffleOpEoEvPT3_j
; %bb.0:
	s_endpgm
	.section	.rodata,"a",@progbits
	.p2align	6, 0x0
	.amdhsa_kernel _Z20warp_exchange_kernelILj256ELj1ELj64EN6common25StripedToBlockedShuffleOpEoEvPT3_j
		.amdhsa_group_segment_fixed_size 0
		.amdhsa_private_segment_fixed_size 0
		.amdhsa_kernarg_size 12
		.amdhsa_user_sgpr_count 15
		.amdhsa_user_sgpr_dispatch_ptr 0
		.amdhsa_user_sgpr_queue_ptr 0
		.amdhsa_user_sgpr_kernarg_segment_ptr 1
		.amdhsa_user_sgpr_dispatch_id 0
		.amdhsa_user_sgpr_private_segment_size 0
		.amdhsa_wavefront_size32 1
		.amdhsa_uses_dynamic_stack 0
		.amdhsa_enable_private_segment 0
		.amdhsa_system_sgpr_workgroup_id_x 1
		.amdhsa_system_sgpr_workgroup_id_y 0
		.amdhsa_system_sgpr_workgroup_id_z 0
		.amdhsa_system_sgpr_workgroup_info 0
		.amdhsa_system_vgpr_workitem_id 0
		.amdhsa_next_free_vgpr 1
		.amdhsa_next_free_sgpr 1
		.amdhsa_reserve_vcc 0
		.amdhsa_float_round_mode_32 0
		.amdhsa_float_round_mode_16_64 0
		.amdhsa_float_denorm_mode_32 3
		.amdhsa_float_denorm_mode_16_64 3
		.amdhsa_dx10_clamp 1
		.amdhsa_ieee_mode 1
		.amdhsa_fp16_overflow 0
		.amdhsa_workgroup_processor_mode 1
		.amdhsa_memory_ordered 1
		.amdhsa_forward_progress 0
		.amdhsa_shared_vgpr_count 0
		.amdhsa_exception_fp_ieee_invalid_op 0
		.amdhsa_exception_fp_denorm_src 0
		.amdhsa_exception_fp_ieee_div_zero 0
		.amdhsa_exception_fp_ieee_overflow 0
		.amdhsa_exception_fp_ieee_underflow 0
		.amdhsa_exception_fp_ieee_inexact 0
		.amdhsa_exception_int_div_zero 0
	.end_amdhsa_kernel
	.section	.text._Z20warp_exchange_kernelILj256ELj1ELj64EN6common25StripedToBlockedShuffleOpEoEvPT3_j,"axG",@progbits,_Z20warp_exchange_kernelILj256ELj1ELj64EN6common25StripedToBlockedShuffleOpEoEvPT3_j,comdat
.Lfunc_end137:
	.size	_Z20warp_exchange_kernelILj256ELj1ELj64EN6common25StripedToBlockedShuffleOpEoEvPT3_j, .Lfunc_end137-_Z20warp_exchange_kernelILj256ELj1ELj64EN6common25StripedToBlockedShuffleOpEoEvPT3_j
                                        ; -- End function
	.section	.AMDGPU.csdata,"",@progbits
; Kernel info:
; codeLenInByte = 4
; NumSgprs: 0
; NumVgprs: 0
; ScratchSize: 0
; MemoryBound: 0
; FloatMode: 240
; IeeeMode: 1
; LDSByteSize: 0 bytes/workgroup (compile time only)
; SGPRBlocks: 0
; VGPRBlocks: 0
; NumSGPRsForWavesPerEU: 1
; NumVGPRsForWavesPerEU: 1
; Occupancy: 16
; WaveLimiterHint : 0
; COMPUTE_PGM_RSRC2:SCRATCH_EN: 0
; COMPUTE_PGM_RSRC2:USER_SGPR: 15
; COMPUTE_PGM_RSRC2:TRAP_HANDLER: 0
; COMPUTE_PGM_RSRC2:TGID_X_EN: 1
; COMPUTE_PGM_RSRC2:TGID_Y_EN: 0
; COMPUTE_PGM_RSRC2:TGID_Z_EN: 0
; COMPUTE_PGM_RSRC2:TIDIG_COMP_CNT: 0
	.section	.text._Z20warp_exchange_kernelILj256ELj4ELj64EN6common25StripedToBlockedShuffleOpEoEvPT3_j,"axG",@progbits,_Z20warp_exchange_kernelILj256ELj4ELj64EN6common25StripedToBlockedShuffleOpEoEvPT3_j,comdat
	.protected	_Z20warp_exchange_kernelILj256ELj4ELj64EN6common25StripedToBlockedShuffleOpEoEvPT3_j ; -- Begin function _Z20warp_exchange_kernelILj256ELj4ELj64EN6common25StripedToBlockedShuffleOpEoEvPT3_j
	.globl	_Z20warp_exchange_kernelILj256ELj4ELj64EN6common25StripedToBlockedShuffleOpEoEvPT3_j
	.p2align	8
	.type	_Z20warp_exchange_kernelILj256ELj4ELj64EN6common25StripedToBlockedShuffleOpEoEvPT3_j,@function
_Z20warp_exchange_kernelILj256ELj4ELj64EN6common25StripedToBlockedShuffleOpEoEvPT3_j: ; @_Z20warp_exchange_kernelILj256ELj4ELj64EN6common25StripedToBlockedShuffleOpEoEvPT3_j
; %bb.0:
	s_endpgm
	.section	.rodata,"a",@progbits
	.p2align	6, 0x0
	.amdhsa_kernel _Z20warp_exchange_kernelILj256ELj4ELj64EN6common25StripedToBlockedShuffleOpEoEvPT3_j
		.amdhsa_group_segment_fixed_size 0
		.amdhsa_private_segment_fixed_size 0
		.amdhsa_kernarg_size 12
		.amdhsa_user_sgpr_count 15
		.amdhsa_user_sgpr_dispatch_ptr 0
		.amdhsa_user_sgpr_queue_ptr 0
		.amdhsa_user_sgpr_kernarg_segment_ptr 1
		.amdhsa_user_sgpr_dispatch_id 0
		.amdhsa_user_sgpr_private_segment_size 0
		.amdhsa_wavefront_size32 1
		.amdhsa_uses_dynamic_stack 0
		.amdhsa_enable_private_segment 0
		.amdhsa_system_sgpr_workgroup_id_x 1
		.amdhsa_system_sgpr_workgroup_id_y 0
		.amdhsa_system_sgpr_workgroup_id_z 0
		.amdhsa_system_sgpr_workgroup_info 0
		.amdhsa_system_vgpr_workitem_id 0
		.amdhsa_next_free_vgpr 1
		.amdhsa_next_free_sgpr 1
		.amdhsa_reserve_vcc 0
		.amdhsa_float_round_mode_32 0
		.amdhsa_float_round_mode_16_64 0
		.amdhsa_float_denorm_mode_32 3
		.amdhsa_float_denorm_mode_16_64 3
		.amdhsa_dx10_clamp 1
		.amdhsa_ieee_mode 1
		.amdhsa_fp16_overflow 0
		.amdhsa_workgroup_processor_mode 1
		.amdhsa_memory_ordered 1
		.amdhsa_forward_progress 0
		.amdhsa_shared_vgpr_count 0
		.amdhsa_exception_fp_ieee_invalid_op 0
		.amdhsa_exception_fp_denorm_src 0
		.amdhsa_exception_fp_ieee_div_zero 0
		.amdhsa_exception_fp_ieee_overflow 0
		.amdhsa_exception_fp_ieee_underflow 0
		.amdhsa_exception_fp_ieee_inexact 0
		.amdhsa_exception_int_div_zero 0
	.end_amdhsa_kernel
	.section	.text._Z20warp_exchange_kernelILj256ELj4ELj64EN6common25StripedToBlockedShuffleOpEoEvPT3_j,"axG",@progbits,_Z20warp_exchange_kernelILj256ELj4ELj64EN6common25StripedToBlockedShuffleOpEoEvPT3_j,comdat
.Lfunc_end138:
	.size	_Z20warp_exchange_kernelILj256ELj4ELj64EN6common25StripedToBlockedShuffleOpEoEvPT3_j, .Lfunc_end138-_Z20warp_exchange_kernelILj256ELj4ELj64EN6common25StripedToBlockedShuffleOpEoEvPT3_j
                                        ; -- End function
	.section	.AMDGPU.csdata,"",@progbits
; Kernel info:
; codeLenInByte = 4
; NumSgprs: 0
; NumVgprs: 0
; ScratchSize: 0
; MemoryBound: 0
; FloatMode: 240
; IeeeMode: 1
; LDSByteSize: 0 bytes/workgroup (compile time only)
; SGPRBlocks: 0
; VGPRBlocks: 0
; NumSGPRsForWavesPerEU: 1
; NumVGPRsForWavesPerEU: 1
; Occupancy: 16
; WaveLimiterHint : 0
; COMPUTE_PGM_RSRC2:SCRATCH_EN: 0
; COMPUTE_PGM_RSRC2:USER_SGPR: 15
; COMPUTE_PGM_RSRC2:TRAP_HANDLER: 0
; COMPUTE_PGM_RSRC2:TGID_X_EN: 1
; COMPUTE_PGM_RSRC2:TGID_Y_EN: 0
; COMPUTE_PGM_RSRC2:TGID_Z_EN: 0
; COMPUTE_PGM_RSRC2:TIDIG_COMP_CNT: 0
	.section	.text._Z20warp_exchange_kernelILj256ELj16ELj64EN6common25StripedToBlockedShuffleOpEoEvPT3_j,"axG",@progbits,_Z20warp_exchange_kernelILj256ELj16ELj64EN6common25StripedToBlockedShuffleOpEoEvPT3_j,comdat
	.protected	_Z20warp_exchange_kernelILj256ELj16ELj64EN6common25StripedToBlockedShuffleOpEoEvPT3_j ; -- Begin function _Z20warp_exchange_kernelILj256ELj16ELj64EN6common25StripedToBlockedShuffleOpEoEvPT3_j
	.globl	_Z20warp_exchange_kernelILj256ELj16ELj64EN6common25StripedToBlockedShuffleOpEoEvPT3_j
	.p2align	8
	.type	_Z20warp_exchange_kernelILj256ELj16ELj64EN6common25StripedToBlockedShuffleOpEoEvPT3_j,@function
_Z20warp_exchange_kernelILj256ELj16ELj64EN6common25StripedToBlockedShuffleOpEoEvPT3_j: ; @_Z20warp_exchange_kernelILj256ELj16ELj64EN6common25StripedToBlockedShuffleOpEoEvPT3_j
; %bb.0:
	s_endpgm
	.section	.rodata,"a",@progbits
	.p2align	6, 0x0
	.amdhsa_kernel _Z20warp_exchange_kernelILj256ELj16ELj64EN6common25StripedToBlockedShuffleOpEoEvPT3_j
		.amdhsa_group_segment_fixed_size 0
		.amdhsa_private_segment_fixed_size 0
		.amdhsa_kernarg_size 12
		.amdhsa_user_sgpr_count 15
		.amdhsa_user_sgpr_dispatch_ptr 0
		.amdhsa_user_sgpr_queue_ptr 0
		.amdhsa_user_sgpr_kernarg_segment_ptr 1
		.amdhsa_user_sgpr_dispatch_id 0
		.amdhsa_user_sgpr_private_segment_size 0
		.amdhsa_wavefront_size32 1
		.amdhsa_uses_dynamic_stack 0
		.amdhsa_enable_private_segment 0
		.amdhsa_system_sgpr_workgroup_id_x 1
		.amdhsa_system_sgpr_workgroup_id_y 0
		.amdhsa_system_sgpr_workgroup_id_z 0
		.amdhsa_system_sgpr_workgroup_info 0
		.amdhsa_system_vgpr_workitem_id 0
		.amdhsa_next_free_vgpr 1
		.amdhsa_next_free_sgpr 1
		.amdhsa_reserve_vcc 0
		.amdhsa_float_round_mode_32 0
		.amdhsa_float_round_mode_16_64 0
		.amdhsa_float_denorm_mode_32 3
		.amdhsa_float_denorm_mode_16_64 3
		.amdhsa_dx10_clamp 1
		.amdhsa_ieee_mode 1
		.amdhsa_fp16_overflow 0
		.amdhsa_workgroup_processor_mode 1
		.amdhsa_memory_ordered 1
		.amdhsa_forward_progress 0
		.amdhsa_shared_vgpr_count 0
		.amdhsa_exception_fp_ieee_invalid_op 0
		.amdhsa_exception_fp_denorm_src 0
		.amdhsa_exception_fp_ieee_div_zero 0
		.amdhsa_exception_fp_ieee_overflow 0
		.amdhsa_exception_fp_ieee_underflow 0
		.amdhsa_exception_fp_ieee_inexact 0
		.amdhsa_exception_int_div_zero 0
	.end_amdhsa_kernel
	.section	.text._Z20warp_exchange_kernelILj256ELj16ELj64EN6common25StripedToBlockedShuffleOpEoEvPT3_j,"axG",@progbits,_Z20warp_exchange_kernelILj256ELj16ELj64EN6common25StripedToBlockedShuffleOpEoEvPT3_j,comdat
.Lfunc_end139:
	.size	_Z20warp_exchange_kernelILj256ELj16ELj64EN6common25StripedToBlockedShuffleOpEoEvPT3_j, .Lfunc_end139-_Z20warp_exchange_kernelILj256ELj16ELj64EN6common25StripedToBlockedShuffleOpEoEvPT3_j
                                        ; -- End function
	.section	.AMDGPU.csdata,"",@progbits
; Kernel info:
; codeLenInByte = 4
; NumSgprs: 0
; NumVgprs: 0
; ScratchSize: 0
; MemoryBound: 0
; FloatMode: 240
; IeeeMode: 1
; LDSByteSize: 0 bytes/workgroup (compile time only)
; SGPRBlocks: 0
; VGPRBlocks: 0
; NumSGPRsForWavesPerEU: 1
; NumVGPRsForWavesPerEU: 1
; Occupancy: 16
; WaveLimiterHint : 0
; COMPUTE_PGM_RSRC2:SCRATCH_EN: 0
; COMPUTE_PGM_RSRC2:USER_SGPR: 15
; COMPUTE_PGM_RSRC2:TRAP_HANDLER: 0
; COMPUTE_PGM_RSRC2:TGID_X_EN: 1
; COMPUTE_PGM_RSRC2:TGID_Y_EN: 0
; COMPUTE_PGM_RSRC2:TGID_Z_EN: 0
; COMPUTE_PGM_RSRC2:TIDIG_COMP_CNT: 0
	.section	.text._Z20warp_exchange_kernelILj256ELj1ELj64E18ScatterToStripedOpoEvPT3_j,"axG",@progbits,_Z20warp_exchange_kernelILj256ELj1ELj64E18ScatterToStripedOpoEvPT3_j,comdat
	.protected	_Z20warp_exchange_kernelILj256ELj1ELj64E18ScatterToStripedOpoEvPT3_j ; -- Begin function _Z20warp_exchange_kernelILj256ELj1ELj64E18ScatterToStripedOpoEvPT3_j
	.globl	_Z20warp_exchange_kernelILj256ELj1ELj64E18ScatterToStripedOpoEvPT3_j
	.p2align	8
	.type	_Z20warp_exchange_kernelILj256ELj1ELj64E18ScatterToStripedOpoEvPT3_j,@function
_Z20warp_exchange_kernelILj256ELj1ELj64E18ScatterToStripedOpoEvPT3_j: ; @_Z20warp_exchange_kernelILj256ELj1ELj64E18ScatterToStripedOpoEvPT3_j
; %bb.0:
	s_endpgm
	.section	.rodata,"a",@progbits
	.p2align	6, 0x0
	.amdhsa_kernel _Z20warp_exchange_kernelILj256ELj1ELj64E18ScatterToStripedOpoEvPT3_j
		.amdhsa_group_segment_fixed_size 0
		.amdhsa_private_segment_fixed_size 0
		.amdhsa_kernarg_size 12
		.amdhsa_user_sgpr_count 15
		.amdhsa_user_sgpr_dispatch_ptr 0
		.amdhsa_user_sgpr_queue_ptr 0
		.amdhsa_user_sgpr_kernarg_segment_ptr 1
		.amdhsa_user_sgpr_dispatch_id 0
		.amdhsa_user_sgpr_private_segment_size 0
		.amdhsa_wavefront_size32 1
		.amdhsa_uses_dynamic_stack 0
		.amdhsa_enable_private_segment 0
		.amdhsa_system_sgpr_workgroup_id_x 1
		.amdhsa_system_sgpr_workgroup_id_y 0
		.amdhsa_system_sgpr_workgroup_id_z 0
		.amdhsa_system_sgpr_workgroup_info 0
		.amdhsa_system_vgpr_workitem_id 0
		.amdhsa_next_free_vgpr 1
		.amdhsa_next_free_sgpr 1
		.amdhsa_reserve_vcc 0
		.amdhsa_float_round_mode_32 0
		.amdhsa_float_round_mode_16_64 0
		.amdhsa_float_denorm_mode_32 3
		.amdhsa_float_denorm_mode_16_64 3
		.amdhsa_dx10_clamp 1
		.amdhsa_ieee_mode 1
		.amdhsa_fp16_overflow 0
		.amdhsa_workgroup_processor_mode 1
		.amdhsa_memory_ordered 1
		.amdhsa_forward_progress 0
		.amdhsa_shared_vgpr_count 0
		.amdhsa_exception_fp_ieee_invalid_op 0
		.amdhsa_exception_fp_denorm_src 0
		.amdhsa_exception_fp_ieee_div_zero 0
		.amdhsa_exception_fp_ieee_overflow 0
		.amdhsa_exception_fp_ieee_underflow 0
		.amdhsa_exception_fp_ieee_inexact 0
		.amdhsa_exception_int_div_zero 0
	.end_amdhsa_kernel
	.section	.text._Z20warp_exchange_kernelILj256ELj1ELj64E18ScatterToStripedOpoEvPT3_j,"axG",@progbits,_Z20warp_exchange_kernelILj256ELj1ELj64E18ScatterToStripedOpoEvPT3_j,comdat
.Lfunc_end140:
	.size	_Z20warp_exchange_kernelILj256ELj1ELj64E18ScatterToStripedOpoEvPT3_j, .Lfunc_end140-_Z20warp_exchange_kernelILj256ELj1ELj64E18ScatterToStripedOpoEvPT3_j
                                        ; -- End function
	.section	.AMDGPU.csdata,"",@progbits
; Kernel info:
; codeLenInByte = 4
; NumSgprs: 0
; NumVgprs: 0
; ScratchSize: 0
; MemoryBound: 0
; FloatMode: 240
; IeeeMode: 1
; LDSByteSize: 0 bytes/workgroup (compile time only)
; SGPRBlocks: 0
; VGPRBlocks: 0
; NumSGPRsForWavesPerEU: 1
; NumVGPRsForWavesPerEU: 1
; Occupancy: 16
; WaveLimiterHint : 0
; COMPUTE_PGM_RSRC2:SCRATCH_EN: 0
; COMPUTE_PGM_RSRC2:USER_SGPR: 15
; COMPUTE_PGM_RSRC2:TRAP_HANDLER: 0
; COMPUTE_PGM_RSRC2:TGID_X_EN: 1
; COMPUTE_PGM_RSRC2:TGID_Y_EN: 0
; COMPUTE_PGM_RSRC2:TGID_Z_EN: 0
; COMPUTE_PGM_RSRC2:TIDIG_COMP_CNT: 0
	.section	.text._Z20warp_exchange_kernelILj256ELj4ELj64E18ScatterToStripedOpoEvPT3_j,"axG",@progbits,_Z20warp_exchange_kernelILj256ELj4ELj64E18ScatterToStripedOpoEvPT3_j,comdat
	.protected	_Z20warp_exchange_kernelILj256ELj4ELj64E18ScatterToStripedOpoEvPT3_j ; -- Begin function _Z20warp_exchange_kernelILj256ELj4ELj64E18ScatterToStripedOpoEvPT3_j
	.globl	_Z20warp_exchange_kernelILj256ELj4ELj64E18ScatterToStripedOpoEvPT3_j
	.p2align	8
	.type	_Z20warp_exchange_kernelILj256ELj4ELj64E18ScatterToStripedOpoEvPT3_j,@function
_Z20warp_exchange_kernelILj256ELj4ELj64E18ScatterToStripedOpoEvPT3_j: ; @_Z20warp_exchange_kernelILj256ELj4ELj64E18ScatterToStripedOpoEvPT3_j
; %bb.0:
	s_endpgm
	.section	.rodata,"a",@progbits
	.p2align	6, 0x0
	.amdhsa_kernel _Z20warp_exchange_kernelILj256ELj4ELj64E18ScatterToStripedOpoEvPT3_j
		.amdhsa_group_segment_fixed_size 0
		.amdhsa_private_segment_fixed_size 0
		.amdhsa_kernarg_size 12
		.amdhsa_user_sgpr_count 15
		.amdhsa_user_sgpr_dispatch_ptr 0
		.amdhsa_user_sgpr_queue_ptr 0
		.amdhsa_user_sgpr_kernarg_segment_ptr 1
		.amdhsa_user_sgpr_dispatch_id 0
		.amdhsa_user_sgpr_private_segment_size 0
		.amdhsa_wavefront_size32 1
		.amdhsa_uses_dynamic_stack 0
		.amdhsa_enable_private_segment 0
		.amdhsa_system_sgpr_workgroup_id_x 1
		.amdhsa_system_sgpr_workgroup_id_y 0
		.amdhsa_system_sgpr_workgroup_id_z 0
		.amdhsa_system_sgpr_workgroup_info 0
		.amdhsa_system_vgpr_workitem_id 0
		.amdhsa_next_free_vgpr 1
		.amdhsa_next_free_sgpr 1
		.amdhsa_reserve_vcc 0
		.amdhsa_float_round_mode_32 0
		.amdhsa_float_round_mode_16_64 0
		.amdhsa_float_denorm_mode_32 3
		.amdhsa_float_denorm_mode_16_64 3
		.amdhsa_dx10_clamp 1
		.amdhsa_ieee_mode 1
		.amdhsa_fp16_overflow 0
		.amdhsa_workgroup_processor_mode 1
		.amdhsa_memory_ordered 1
		.amdhsa_forward_progress 0
		.amdhsa_shared_vgpr_count 0
		.amdhsa_exception_fp_ieee_invalid_op 0
		.amdhsa_exception_fp_denorm_src 0
		.amdhsa_exception_fp_ieee_div_zero 0
		.amdhsa_exception_fp_ieee_overflow 0
		.amdhsa_exception_fp_ieee_underflow 0
		.amdhsa_exception_fp_ieee_inexact 0
		.amdhsa_exception_int_div_zero 0
	.end_amdhsa_kernel
	.section	.text._Z20warp_exchange_kernelILj256ELj4ELj64E18ScatterToStripedOpoEvPT3_j,"axG",@progbits,_Z20warp_exchange_kernelILj256ELj4ELj64E18ScatterToStripedOpoEvPT3_j,comdat
.Lfunc_end141:
	.size	_Z20warp_exchange_kernelILj256ELj4ELj64E18ScatterToStripedOpoEvPT3_j, .Lfunc_end141-_Z20warp_exchange_kernelILj256ELj4ELj64E18ScatterToStripedOpoEvPT3_j
                                        ; -- End function
	.section	.AMDGPU.csdata,"",@progbits
; Kernel info:
; codeLenInByte = 4
; NumSgprs: 0
; NumVgprs: 0
; ScratchSize: 0
; MemoryBound: 0
; FloatMode: 240
; IeeeMode: 1
; LDSByteSize: 0 bytes/workgroup (compile time only)
; SGPRBlocks: 0
; VGPRBlocks: 0
; NumSGPRsForWavesPerEU: 1
; NumVGPRsForWavesPerEU: 1
; Occupancy: 16
; WaveLimiterHint : 0
; COMPUTE_PGM_RSRC2:SCRATCH_EN: 0
; COMPUTE_PGM_RSRC2:USER_SGPR: 15
; COMPUTE_PGM_RSRC2:TRAP_HANDLER: 0
; COMPUTE_PGM_RSRC2:TGID_X_EN: 1
; COMPUTE_PGM_RSRC2:TGID_Y_EN: 0
; COMPUTE_PGM_RSRC2:TGID_Z_EN: 0
; COMPUTE_PGM_RSRC2:TIDIG_COMP_CNT: 0
	.section	.text._Z20warp_exchange_kernelILj256ELj16ELj64E18ScatterToStripedOpoEvPT3_j,"axG",@progbits,_Z20warp_exchange_kernelILj256ELj16ELj64E18ScatterToStripedOpoEvPT3_j,comdat
	.protected	_Z20warp_exchange_kernelILj256ELj16ELj64E18ScatterToStripedOpoEvPT3_j ; -- Begin function _Z20warp_exchange_kernelILj256ELj16ELj64E18ScatterToStripedOpoEvPT3_j
	.globl	_Z20warp_exchange_kernelILj256ELj16ELj64E18ScatterToStripedOpoEvPT3_j
	.p2align	8
	.type	_Z20warp_exchange_kernelILj256ELj16ELj64E18ScatterToStripedOpoEvPT3_j,@function
_Z20warp_exchange_kernelILj256ELj16ELj64E18ScatterToStripedOpoEvPT3_j: ; @_Z20warp_exchange_kernelILj256ELj16ELj64E18ScatterToStripedOpoEvPT3_j
; %bb.0:
	s_endpgm
	.section	.rodata,"a",@progbits
	.p2align	6, 0x0
	.amdhsa_kernel _Z20warp_exchange_kernelILj256ELj16ELj64E18ScatterToStripedOpoEvPT3_j
		.amdhsa_group_segment_fixed_size 0
		.amdhsa_private_segment_fixed_size 0
		.amdhsa_kernarg_size 12
		.amdhsa_user_sgpr_count 15
		.amdhsa_user_sgpr_dispatch_ptr 0
		.amdhsa_user_sgpr_queue_ptr 0
		.amdhsa_user_sgpr_kernarg_segment_ptr 1
		.amdhsa_user_sgpr_dispatch_id 0
		.amdhsa_user_sgpr_private_segment_size 0
		.amdhsa_wavefront_size32 1
		.amdhsa_uses_dynamic_stack 0
		.amdhsa_enable_private_segment 0
		.amdhsa_system_sgpr_workgroup_id_x 1
		.amdhsa_system_sgpr_workgroup_id_y 0
		.amdhsa_system_sgpr_workgroup_id_z 0
		.amdhsa_system_sgpr_workgroup_info 0
		.amdhsa_system_vgpr_workitem_id 0
		.amdhsa_next_free_vgpr 1
		.amdhsa_next_free_sgpr 1
		.amdhsa_reserve_vcc 0
		.amdhsa_float_round_mode_32 0
		.amdhsa_float_round_mode_16_64 0
		.amdhsa_float_denorm_mode_32 3
		.amdhsa_float_denorm_mode_16_64 3
		.amdhsa_dx10_clamp 1
		.amdhsa_ieee_mode 1
		.amdhsa_fp16_overflow 0
		.amdhsa_workgroup_processor_mode 1
		.amdhsa_memory_ordered 1
		.amdhsa_forward_progress 0
		.amdhsa_shared_vgpr_count 0
		.amdhsa_exception_fp_ieee_invalid_op 0
		.amdhsa_exception_fp_denorm_src 0
		.amdhsa_exception_fp_ieee_div_zero 0
		.amdhsa_exception_fp_ieee_overflow 0
		.amdhsa_exception_fp_ieee_underflow 0
		.amdhsa_exception_fp_ieee_inexact 0
		.amdhsa_exception_int_div_zero 0
	.end_amdhsa_kernel
	.section	.text._Z20warp_exchange_kernelILj256ELj16ELj64E18ScatterToStripedOpoEvPT3_j,"axG",@progbits,_Z20warp_exchange_kernelILj256ELj16ELj64E18ScatterToStripedOpoEvPT3_j,comdat
.Lfunc_end142:
	.size	_Z20warp_exchange_kernelILj256ELj16ELj64E18ScatterToStripedOpoEvPT3_j, .Lfunc_end142-_Z20warp_exchange_kernelILj256ELj16ELj64E18ScatterToStripedOpoEvPT3_j
                                        ; -- End function
	.section	.AMDGPU.csdata,"",@progbits
; Kernel info:
; codeLenInByte = 4
; NumSgprs: 0
; NumVgprs: 0
; ScratchSize: 0
; MemoryBound: 0
; FloatMode: 240
; IeeeMode: 1
; LDSByteSize: 0 bytes/workgroup (compile time only)
; SGPRBlocks: 0
; VGPRBlocks: 0
; NumSGPRsForWavesPerEU: 1
; NumVGPRsForWavesPerEU: 1
; Occupancy: 16
; WaveLimiterHint : 0
; COMPUTE_PGM_RSRC2:SCRATCH_EN: 0
; COMPUTE_PGM_RSRC2:USER_SGPR: 15
; COMPUTE_PGM_RSRC2:TRAP_HANDLER: 0
; COMPUTE_PGM_RSRC2:TGID_X_EN: 1
; COMPUTE_PGM_RSRC2:TGID_Y_EN: 0
; COMPUTE_PGM_RSRC2:TGID_Z_EN: 0
; COMPUTE_PGM_RSRC2:TIDIG_COMP_CNT: 0
	.text
	.p2alignl 7, 3214868480
	.fill 96, 4, 3214868480
	.type	__hip_cuid_7f2dd3ccd1627995,@object ; @__hip_cuid_7f2dd3ccd1627995
	.section	.bss,"aw",@nobits
	.globl	__hip_cuid_7f2dd3ccd1627995
__hip_cuid_7f2dd3ccd1627995:
	.byte	0                               ; 0x0
	.size	__hip_cuid_7f2dd3ccd1627995, 1

	.ident	"AMD clang version 19.0.0git (https://github.com/RadeonOpenCompute/llvm-project roc-6.4.0 25133 c7fe45cf4b819c5991fe208aaa96edf142730f1d)"
	.section	".note.GNU-stack","",@progbits
	.addrsig
	.addrsig_sym __hip_cuid_7f2dd3ccd1627995
	.amdgpu_metadata
---
amdhsa.kernels:
  - .args:
      - .address_space:  global
        .offset:         0
        .size:           8
        .value_kind:     global_buffer
      - .offset:         8
        .size:           4
        .value_kind:     by_value
    .group_segment_fixed_size: 1024
    .kernarg_segment_align: 8
    .kernarg_segment_size: 12
    .language:       OpenCL C
    .language_version:
      - 2
      - 0
    .max_flat_workgroup_size: 256
    .name:           _Z20warp_exchange_kernelILj256ELj1ELj16EN6common18BlockedToStripedOpEiEvPT3_j
    .private_segment_fixed_size: 0
    .sgpr_count:     18
    .sgpr_spill_count: 0
    .symbol:         _Z20warp_exchange_kernelILj256ELj1ELj16EN6common18BlockedToStripedOpEiEvPT3_j.kd
    .uniform_work_group_size: 1
    .uses_dynamic_stack: false
    .vgpr_count:     4
    .vgpr_spill_count: 0
    .wavefront_size: 32
    .workgroup_processor_mode: 1
  - .args:
      - .address_space:  global
        .offset:         0
        .size:           8
        .value_kind:     global_buffer
      - .offset:         8
        .size:           4
        .value_kind:     by_value
    .group_segment_fixed_size: 1024
    .kernarg_segment_align: 8
    .kernarg_segment_size: 12
    .language:       OpenCL C
    .language_version:
      - 2
      - 0
    .max_flat_workgroup_size: 256
    .name:           _Z20warp_exchange_kernelILj256ELj1ELj32EN6common18BlockedToStripedOpEiEvPT3_j
    .private_segment_fixed_size: 0
    .sgpr_count:     18
    .sgpr_spill_count: 0
    .symbol:         _Z20warp_exchange_kernelILj256ELj1ELj32EN6common18BlockedToStripedOpEiEvPT3_j.kd
    .uniform_work_group_size: 1
    .uses_dynamic_stack: false
    .vgpr_count:     4
    .vgpr_spill_count: 0
    .wavefront_size: 32
    .workgroup_processor_mode: 1
  - .args:
      - .address_space:  global
        .offset:         0
        .size:           8
        .value_kind:     global_buffer
      - .offset:         8
        .size:           4
        .value_kind:     by_value
    .group_segment_fixed_size: 4096
    .kernarg_segment_align: 8
    .kernarg_segment_size: 12
    .language:       OpenCL C
    .language_version:
      - 2
      - 0
    .max_flat_workgroup_size: 256
    .name:           _Z20warp_exchange_kernelILj256ELj4ELj16EN6common18BlockedToStripedOpEiEvPT3_j
    .private_segment_fixed_size: 0
    .sgpr_count:     18
    .sgpr_spill_count: 0
    .symbol:         _Z20warp_exchange_kernelILj256ELj4ELj16EN6common18BlockedToStripedOpEiEvPT3_j.kd
    .uniform_work_group_size: 1
    .uses_dynamic_stack: false
    .vgpr_count:     8
    .vgpr_spill_count: 0
    .wavefront_size: 32
    .workgroup_processor_mode: 1
  - .args:
      - .address_space:  global
        .offset:         0
        .size:           8
        .value_kind:     global_buffer
      - .offset:         8
        .size:           4
        .value_kind:     by_value
    .group_segment_fixed_size: 4096
    .kernarg_segment_align: 8
    .kernarg_segment_size: 12
    .language:       OpenCL C
    .language_version:
      - 2
      - 0
    .max_flat_workgroup_size: 256
    .name:           _Z20warp_exchange_kernelILj256ELj4ELj32EN6common18BlockedToStripedOpEiEvPT3_j
    .private_segment_fixed_size: 0
    .sgpr_count:     18
    .sgpr_spill_count: 0
    .symbol:         _Z20warp_exchange_kernelILj256ELj4ELj32EN6common18BlockedToStripedOpEiEvPT3_j.kd
    .uniform_work_group_size: 1
    .uses_dynamic_stack: false
    .vgpr_count:     7
    .vgpr_spill_count: 0
    .wavefront_size: 32
    .workgroup_processor_mode: 1
  - .args:
      - .address_space:  global
        .offset:         0
        .size:           8
        .value_kind:     global_buffer
      - .offset:         8
        .size:           4
        .value_kind:     by_value
    .group_segment_fixed_size: 16384
    .kernarg_segment_align: 8
    .kernarg_segment_size: 12
    .language:       OpenCL C
    .language_version:
      - 2
      - 0
    .max_flat_workgroup_size: 256
    .name:           _Z20warp_exchange_kernelILj256ELj16ELj16EN6common18BlockedToStripedOpEiEvPT3_j
    .private_segment_fixed_size: 0
    .sgpr_count:     18
    .sgpr_spill_count: 0
    .symbol:         _Z20warp_exchange_kernelILj256ELj16ELj16EN6common18BlockedToStripedOpEiEvPT3_j.kd
    .uniform_work_group_size: 1
    .uses_dynamic_stack: false
    .vgpr_count:     19
    .vgpr_spill_count: 0
    .wavefront_size: 32
    .workgroup_processor_mode: 1
  - .args:
      - .address_space:  global
        .offset:         0
        .size:           8
        .value_kind:     global_buffer
      - .offset:         8
        .size:           4
        .value_kind:     by_value
    .group_segment_fixed_size: 16384
    .kernarg_segment_align: 8
    .kernarg_segment_size: 12
    .language:       OpenCL C
    .language_version:
      - 2
      - 0
    .max_flat_workgroup_size: 256
    .name:           _Z20warp_exchange_kernelILj256ELj16ELj32EN6common18BlockedToStripedOpEiEvPT3_j
    .private_segment_fixed_size: 0
    .sgpr_count:     18
    .sgpr_spill_count: 0
    .symbol:         _Z20warp_exchange_kernelILj256ELj16ELj32EN6common18BlockedToStripedOpEiEvPT3_j.kd
    .uniform_work_group_size: 1
    .uses_dynamic_stack: false
    .vgpr_count:     20
    .vgpr_spill_count: 0
    .wavefront_size: 32
    .workgroup_processor_mode: 1
  - .args:
      - .address_space:  global
        .offset:         0
        .size:           8
        .value_kind:     global_buffer
      - .offset:         8
        .size:           4
        .value_kind:     by_value
    .group_segment_fixed_size: 32768
    .kernarg_segment_align: 8
    .kernarg_segment_size: 12
    .language:       OpenCL C
    .language_version:
      - 2
      - 0
    .max_flat_workgroup_size: 256
    .name:           _Z20warp_exchange_kernelILj256ELj32ELj32EN6common18BlockedToStripedOpEiEvPT3_j
    .private_segment_fixed_size: 0
    .sgpr_count:     18
    .sgpr_spill_count: 0
    .symbol:         _Z20warp_exchange_kernelILj256ELj32ELj32EN6common18BlockedToStripedOpEiEvPT3_j.kd
    .uniform_work_group_size: 1
    .uses_dynamic_stack: false
    .vgpr_count:     38
    .vgpr_spill_count: 0
    .wavefront_size: 32
    .workgroup_processor_mode: 1
  - .args:
      - .address_space:  global
        .offset:         0
        .size:           8
        .value_kind:     global_buffer
      - .offset:         8
        .size:           4
        .value_kind:     by_value
    .group_segment_fixed_size: 1024
    .kernarg_segment_align: 8
    .kernarg_segment_size: 12
    .language:       OpenCL C
    .language_version:
      - 2
      - 0
    .max_flat_workgroup_size: 256
    .name:           _Z20warp_exchange_kernelILj256ELj1ELj16EN6common18StripedToBlockedOpEiEvPT3_j
    .private_segment_fixed_size: 0
    .sgpr_count:     18
    .sgpr_spill_count: 0
    .symbol:         _Z20warp_exchange_kernelILj256ELj1ELj16EN6common18StripedToBlockedOpEiEvPT3_j.kd
    .uniform_work_group_size: 1
    .uses_dynamic_stack: false
    .vgpr_count:     4
    .vgpr_spill_count: 0
    .wavefront_size: 32
    .workgroup_processor_mode: 1
  - .args:
      - .address_space:  global
        .offset:         0
        .size:           8
        .value_kind:     global_buffer
      - .offset:         8
        .size:           4
        .value_kind:     by_value
    .group_segment_fixed_size: 1024
    .kernarg_segment_align: 8
    .kernarg_segment_size: 12
    .language:       OpenCL C
    .language_version:
      - 2
      - 0
    .max_flat_workgroup_size: 256
    .name:           _Z20warp_exchange_kernelILj256ELj1ELj32EN6common18StripedToBlockedOpEiEvPT3_j
    .private_segment_fixed_size: 0
    .sgpr_count:     18
    .sgpr_spill_count: 0
    .symbol:         _Z20warp_exchange_kernelILj256ELj1ELj32EN6common18StripedToBlockedOpEiEvPT3_j.kd
    .uniform_work_group_size: 1
    .uses_dynamic_stack: false
    .vgpr_count:     4
    .vgpr_spill_count: 0
    .wavefront_size: 32
    .workgroup_processor_mode: 1
  - .args:
      - .address_space:  global
        .offset:         0
        .size:           8
        .value_kind:     global_buffer
      - .offset:         8
        .size:           4
        .value_kind:     by_value
    .group_segment_fixed_size: 4096
    .kernarg_segment_align: 8
    .kernarg_segment_size: 12
    .language:       OpenCL C
    .language_version:
      - 2
      - 0
    .max_flat_workgroup_size: 256
    .name:           _Z20warp_exchange_kernelILj256ELj4ELj16EN6common18StripedToBlockedOpEiEvPT3_j
    .private_segment_fixed_size: 0
    .sgpr_count:     18
    .sgpr_spill_count: 0
    .symbol:         _Z20warp_exchange_kernelILj256ELj4ELj16EN6common18StripedToBlockedOpEiEvPT3_j.kd
    .uniform_work_group_size: 1
    .uses_dynamic_stack: false
    .vgpr_count:     8
    .vgpr_spill_count: 0
    .wavefront_size: 32
    .workgroup_processor_mode: 1
  - .args:
      - .address_space:  global
        .offset:         0
        .size:           8
        .value_kind:     global_buffer
      - .offset:         8
        .size:           4
        .value_kind:     by_value
    .group_segment_fixed_size: 4096
    .kernarg_segment_align: 8
    .kernarg_segment_size: 12
    .language:       OpenCL C
    .language_version:
      - 2
      - 0
    .max_flat_workgroup_size: 256
    .name:           _Z20warp_exchange_kernelILj256ELj4ELj32EN6common18StripedToBlockedOpEiEvPT3_j
    .private_segment_fixed_size: 0
    .sgpr_count:     18
    .sgpr_spill_count: 0
    .symbol:         _Z20warp_exchange_kernelILj256ELj4ELj32EN6common18StripedToBlockedOpEiEvPT3_j.kd
    .uniform_work_group_size: 1
    .uses_dynamic_stack: false
    .vgpr_count:     7
    .vgpr_spill_count: 0
    .wavefront_size: 32
    .workgroup_processor_mode: 1
  - .args:
      - .address_space:  global
        .offset:         0
        .size:           8
        .value_kind:     global_buffer
      - .offset:         8
        .size:           4
        .value_kind:     by_value
    .group_segment_fixed_size: 16384
    .kernarg_segment_align: 8
    .kernarg_segment_size: 12
    .language:       OpenCL C
    .language_version:
      - 2
      - 0
    .max_flat_workgroup_size: 256
    .name:           _Z20warp_exchange_kernelILj256ELj16ELj16EN6common18StripedToBlockedOpEiEvPT3_j
    .private_segment_fixed_size: 0
    .sgpr_count:     18
    .sgpr_spill_count: 0
    .symbol:         _Z20warp_exchange_kernelILj256ELj16ELj16EN6common18StripedToBlockedOpEiEvPT3_j.kd
    .uniform_work_group_size: 1
    .uses_dynamic_stack: false
    .vgpr_count:     19
    .vgpr_spill_count: 0
    .wavefront_size: 32
    .workgroup_processor_mode: 1
  - .args:
      - .address_space:  global
        .offset:         0
        .size:           8
        .value_kind:     global_buffer
      - .offset:         8
        .size:           4
        .value_kind:     by_value
    .group_segment_fixed_size: 16384
    .kernarg_segment_align: 8
    .kernarg_segment_size: 12
    .language:       OpenCL C
    .language_version:
      - 2
      - 0
    .max_flat_workgroup_size: 256
    .name:           _Z20warp_exchange_kernelILj256ELj16ELj32EN6common18StripedToBlockedOpEiEvPT3_j
    .private_segment_fixed_size: 0
    .sgpr_count:     18
    .sgpr_spill_count: 0
    .symbol:         _Z20warp_exchange_kernelILj256ELj16ELj32EN6common18StripedToBlockedOpEiEvPT3_j.kd
    .uniform_work_group_size: 1
    .uses_dynamic_stack: false
    .vgpr_count:     20
    .vgpr_spill_count: 0
    .wavefront_size: 32
    .workgroup_processor_mode: 1
  - .args:
      - .address_space:  global
        .offset:         0
        .size:           8
        .value_kind:     global_buffer
      - .offset:         8
        .size:           4
        .value_kind:     by_value
    .group_segment_fixed_size: 32768
    .kernarg_segment_align: 8
    .kernarg_segment_size: 12
    .language:       OpenCL C
    .language_version:
      - 2
      - 0
    .max_flat_workgroup_size: 256
    .name:           _Z20warp_exchange_kernelILj256ELj32ELj32EN6common18StripedToBlockedOpEiEvPT3_j
    .private_segment_fixed_size: 0
    .sgpr_count:     18
    .sgpr_spill_count: 0
    .symbol:         _Z20warp_exchange_kernelILj256ELj32ELj32EN6common18StripedToBlockedOpEiEvPT3_j.kd
    .uniform_work_group_size: 1
    .uses_dynamic_stack: false
    .vgpr_count:     38
    .vgpr_spill_count: 0
    .wavefront_size: 32
    .workgroup_processor_mode: 1
  - .args:
      - .address_space:  global
        .offset:         0
        .size:           8
        .value_kind:     global_buffer
      - .offset:         8
        .size:           4
        .value_kind:     by_value
    .group_segment_fixed_size: 0
    .kernarg_segment_align: 8
    .kernarg_segment_size: 12
    .language:       OpenCL C
    .language_version:
      - 2
      - 0
    .max_flat_workgroup_size: 256
    .name:           _Z20warp_exchange_kernelILj256ELj1ELj16EN6common25BlockedToStripedShuffleOpEiEvPT3_j
    .private_segment_fixed_size: 0
    .sgpr_count:     18
    .sgpr_spill_count: 0
    .symbol:         _Z20warp_exchange_kernelILj256ELj1ELj16EN6common25BlockedToStripedShuffleOpEiEvPT3_j.kd
    .uniform_work_group_size: 1
    .uses_dynamic_stack: false
    .vgpr_count:     4
    .vgpr_spill_count: 0
    .wavefront_size: 32
    .workgroup_processor_mode: 1
  - .args:
      - .address_space:  global
        .offset:         0
        .size:           8
        .value_kind:     global_buffer
      - .offset:         8
        .size:           4
        .value_kind:     by_value
    .group_segment_fixed_size: 0
    .kernarg_segment_align: 8
    .kernarg_segment_size: 12
    .language:       OpenCL C
    .language_version:
      - 2
      - 0
    .max_flat_workgroup_size: 256
    .name:           _Z20warp_exchange_kernelILj256ELj1ELj32EN6common25BlockedToStripedShuffleOpEiEvPT3_j
    .private_segment_fixed_size: 0
    .sgpr_count:     18
    .sgpr_spill_count: 0
    .symbol:         _Z20warp_exchange_kernelILj256ELj1ELj32EN6common25BlockedToStripedShuffleOpEiEvPT3_j.kd
    .uniform_work_group_size: 1
    .uses_dynamic_stack: false
    .vgpr_count:     4
    .vgpr_spill_count: 0
    .wavefront_size: 32
    .workgroup_processor_mode: 1
  - .args:
      - .address_space:  global
        .offset:         0
        .size:           8
        .value_kind:     global_buffer
      - .offset:         8
        .size:           4
        .value_kind:     by_value
    .group_segment_fixed_size: 0
    .kernarg_segment_align: 8
    .kernarg_segment_size: 12
    .language:       OpenCL C
    .language_version:
      - 2
      - 0
    .max_flat_workgroup_size: 256
    .name:           _Z20warp_exchange_kernelILj256ELj4ELj16EN6common25BlockedToStripedShuffleOpEiEvPT3_j
    .private_segment_fixed_size: 0
    .sgpr_count:     29
    .sgpr_spill_count: 0
    .symbol:         _Z20warp_exchange_kernelILj256ELj4ELj16EN6common25BlockedToStripedShuffleOpEiEvPT3_j.kd
    .uniform_work_group_size: 1
    .uses_dynamic_stack: false
    .vgpr_count:     16
    .vgpr_spill_count: 0
    .wavefront_size: 32
    .workgroup_processor_mode: 1
  - .args:
      - .address_space:  global
        .offset:         0
        .size:           8
        .value_kind:     global_buffer
      - .offset:         8
        .size:           4
        .value_kind:     by_value
    .group_segment_fixed_size: 0
    .kernarg_segment_align: 8
    .kernarg_segment_size: 12
    .language:       OpenCL C
    .language_version:
      - 2
      - 0
    .max_flat_workgroup_size: 256
    .name:           _Z20warp_exchange_kernelILj256ELj4ELj32EN6common25BlockedToStripedShuffleOpEiEvPT3_j
    .private_segment_fixed_size: 0
    .sgpr_count:     18
    .sgpr_spill_count: 0
    .symbol:         _Z20warp_exchange_kernelILj256ELj4ELj32EN6common25BlockedToStripedShuffleOpEiEvPT3_j.kd
    .uniform_work_group_size: 1
    .uses_dynamic_stack: false
    .vgpr_count:     21
    .vgpr_spill_count: 0
    .wavefront_size: 32
    .workgroup_processor_mode: 1
  - .args:
      - .address_space:  global
        .offset:         0
        .size:           8
        .value_kind:     global_buffer
      - .offset:         8
        .size:           4
        .value_kind:     by_value
    .group_segment_fixed_size: 16384
    .kernarg_segment_align: 8
    .kernarg_segment_size: 12
    .language:       OpenCL C
    .language_version:
      - 2
      - 0
    .max_flat_workgroup_size: 256
    .name:           _Z20warp_exchange_kernelILj256ELj16ELj16EN6common25BlockedToStripedShuffleOpEiEvPT3_j
    .private_segment_fixed_size: 0
    .sgpr_count:     18
    .sgpr_spill_count: 0
    .symbol:         _Z20warp_exchange_kernelILj256ELj16ELj16EN6common25BlockedToStripedShuffleOpEiEvPT3_j.kd
    .uniform_work_group_size: 1
    .uses_dynamic_stack: false
    .vgpr_count:     53
    .vgpr_spill_count: 0
    .wavefront_size: 32
    .workgroup_processor_mode: 1
  - .args:
      - .address_space:  global
        .offset:         0
        .size:           8
        .value_kind:     global_buffer
      - .offset:         8
        .size:           4
        .value_kind:     by_value
    .group_segment_fixed_size: 0
    .kernarg_segment_align: 8
    .kernarg_segment_size: 12
    .language:       OpenCL C
    .language_version:
      - 2
      - 0
    .max_flat_workgroup_size: 256
    .name:           _Z20warp_exchange_kernelILj256ELj16ELj32EN6common25BlockedToStripedShuffleOpEiEvPT3_j
    .private_segment_fixed_size: 0
    .sgpr_count:     107
    .sgpr_spill_count: 3
    .symbol:         _Z20warp_exchange_kernelILj256ELj16ELj32EN6common25BlockedToStripedShuffleOpEiEvPT3_j.kd
    .uniform_work_group_size: 1
    .uses_dynamic_stack: false
    .vgpr_count:     66
    .vgpr_spill_count: 0
    .wavefront_size: 32
    .workgroup_processor_mode: 1
  - .args:
      - .address_space:  global
        .offset:         0
        .size:           8
        .value_kind:     global_buffer
      - .offset:         8
        .size:           4
        .value_kind:     by_value
    .group_segment_fixed_size: 0
    .kernarg_segment_align: 8
    .kernarg_segment_size: 12
    .language:       OpenCL C
    .language_version:
      - 2
      - 0
    .max_flat_workgroup_size: 256
    .name:           _Z20warp_exchange_kernelILj256ELj32ELj32EN6common25BlockedToStripedShuffleOpEiEvPT3_j
    .private_segment_fixed_size: 144
    .sgpr_count:     18
    .sgpr_spill_count: 0
    .symbol:         _Z20warp_exchange_kernelILj256ELj32ELj32EN6common25BlockedToStripedShuffleOpEiEvPT3_j.kd
    .uniform_work_group_size: 1
    .uses_dynamic_stack: false
    .vgpr_count:     115
    .vgpr_spill_count: 0
    .wavefront_size: 32
    .workgroup_processor_mode: 1
  - .args:
      - .address_space:  global
        .offset:         0
        .size:           8
        .value_kind:     global_buffer
      - .offset:         8
        .size:           4
        .value_kind:     by_value
    .group_segment_fixed_size: 0
    .kernarg_segment_align: 8
    .kernarg_segment_size: 12
    .language:       OpenCL C
    .language_version:
      - 2
      - 0
    .max_flat_workgroup_size: 256
    .name:           _Z20warp_exchange_kernelILj256ELj1ELj16EN6common25StripedToBlockedShuffleOpEiEvPT3_j
    .private_segment_fixed_size: 0
    .sgpr_count:     18
    .sgpr_spill_count: 0
    .symbol:         _Z20warp_exchange_kernelILj256ELj1ELj16EN6common25StripedToBlockedShuffleOpEiEvPT3_j.kd
    .uniform_work_group_size: 1
    .uses_dynamic_stack: false
    .vgpr_count:     4
    .vgpr_spill_count: 0
    .wavefront_size: 32
    .workgroup_processor_mode: 1
  - .args:
      - .address_space:  global
        .offset:         0
        .size:           8
        .value_kind:     global_buffer
      - .offset:         8
        .size:           4
        .value_kind:     by_value
    .group_segment_fixed_size: 0
    .kernarg_segment_align: 8
    .kernarg_segment_size: 12
    .language:       OpenCL C
    .language_version:
      - 2
      - 0
    .max_flat_workgroup_size: 256
    .name:           _Z20warp_exchange_kernelILj256ELj1ELj32EN6common25StripedToBlockedShuffleOpEiEvPT3_j
    .private_segment_fixed_size: 0
    .sgpr_count:     18
    .sgpr_spill_count: 0
    .symbol:         _Z20warp_exchange_kernelILj256ELj1ELj32EN6common25StripedToBlockedShuffleOpEiEvPT3_j.kd
    .uniform_work_group_size: 1
    .uses_dynamic_stack: false
    .vgpr_count:     4
    .vgpr_spill_count: 0
    .wavefront_size: 32
    .workgroup_processor_mode: 1
  - .args:
      - .address_space:  global
        .offset:         0
        .size:           8
        .value_kind:     global_buffer
      - .offset:         8
        .size:           4
        .value_kind:     by_value
    .group_segment_fixed_size: 0
    .kernarg_segment_align: 8
    .kernarg_segment_size: 12
    .language:       OpenCL C
    .language_version:
      - 2
      - 0
    .max_flat_workgroup_size: 256
    .name:           _Z20warp_exchange_kernelILj256ELj4ELj16EN6common25StripedToBlockedShuffleOpEiEvPT3_j
    .private_segment_fixed_size: 0
    .sgpr_count:     32
    .sgpr_spill_count: 0
    .symbol:         _Z20warp_exchange_kernelILj256ELj4ELj16EN6common25StripedToBlockedShuffleOpEiEvPT3_j.kd
    .uniform_work_group_size: 1
    .uses_dynamic_stack: false
    .vgpr_count:     14
    .vgpr_spill_count: 0
    .wavefront_size: 32
    .workgroup_processor_mode: 1
  - .args:
      - .address_space:  global
        .offset:         0
        .size:           8
        .value_kind:     global_buffer
      - .offset:         8
        .size:           4
        .value_kind:     by_value
    .group_segment_fixed_size: 0
    .kernarg_segment_align: 8
    .kernarg_segment_size: 12
    .language:       OpenCL C
    .language_version:
      - 2
      - 0
    .max_flat_workgroup_size: 256
    .name:           _Z20warp_exchange_kernelILj256ELj4ELj32EN6common25StripedToBlockedShuffleOpEiEvPT3_j
    .private_segment_fixed_size: 0
    .sgpr_count:     18
    .sgpr_spill_count: 0
    .symbol:         _Z20warp_exchange_kernelILj256ELj4ELj32EN6common25StripedToBlockedShuffleOpEiEvPT3_j.kd
    .uniform_work_group_size: 1
    .uses_dynamic_stack: false
    .vgpr_count:     21
    .vgpr_spill_count: 0
    .wavefront_size: 32
    .workgroup_processor_mode: 1
  - .args:
      - .address_space:  global
        .offset:         0
        .size:           8
        .value_kind:     global_buffer
      - .offset:         8
        .size:           4
        .value_kind:     by_value
    .group_segment_fixed_size: 16384
    .kernarg_segment_align: 8
    .kernarg_segment_size: 12
    .language:       OpenCL C
    .language_version:
      - 2
      - 0
    .max_flat_workgroup_size: 256
    .name:           _Z20warp_exchange_kernelILj256ELj16ELj16EN6common25StripedToBlockedShuffleOpEiEvPT3_j
    .private_segment_fixed_size: 0
    .sgpr_count:     18
    .sgpr_spill_count: 0
    .symbol:         _Z20warp_exchange_kernelILj256ELj16ELj16EN6common25StripedToBlockedShuffleOpEiEvPT3_j.kd
    .uniform_work_group_size: 1
    .uses_dynamic_stack: false
    .vgpr_count:     53
    .vgpr_spill_count: 0
    .wavefront_size: 32
    .workgroup_processor_mode: 1
  - .args:
      - .address_space:  global
        .offset:         0
        .size:           8
        .value_kind:     global_buffer
      - .offset:         8
        .size:           4
        .value_kind:     by_value
    .group_segment_fixed_size: 0
    .kernarg_segment_align: 8
    .kernarg_segment_size: 12
    .language:       OpenCL C
    .language_version:
      - 2
      - 0
    .max_flat_workgroup_size: 256
    .name:           _Z20warp_exchange_kernelILj256ELj16ELj32EN6common25StripedToBlockedShuffleOpEiEvPT3_j
    .private_segment_fixed_size: 0
    .sgpr_count:     107
    .sgpr_spill_count: 0
    .symbol:         _Z20warp_exchange_kernelILj256ELj16ELj32EN6common25StripedToBlockedShuffleOpEiEvPT3_j.kd
    .uniform_work_group_size: 1
    .uses_dynamic_stack: false
    .vgpr_count:     80
    .vgpr_spill_count: 0
    .wavefront_size: 32
    .workgroup_processor_mode: 1
  - .args:
      - .address_space:  global
        .offset:         0
        .size:           8
        .value_kind:     global_buffer
      - .offset:         8
        .size:           4
        .value_kind:     by_value
    .group_segment_fixed_size: 0
    .kernarg_segment_align: 8
    .kernarg_segment_size: 12
    .language:       OpenCL C
    .language_version:
      - 2
      - 0
    .max_flat_workgroup_size: 256
    .name:           _Z20warp_exchange_kernelILj256ELj32ELj32EN6common25StripedToBlockedShuffleOpEiEvPT3_j
    .private_segment_fixed_size: 144
    .sgpr_count:     18
    .sgpr_spill_count: 0
    .symbol:         _Z20warp_exchange_kernelILj256ELj32ELj32EN6common25StripedToBlockedShuffleOpEiEvPT3_j.kd
    .uniform_work_group_size: 1
    .uses_dynamic_stack: false
    .vgpr_count:     115
    .vgpr_spill_count: 0
    .wavefront_size: 32
    .workgroup_processor_mode: 1
  - .args:
      - .address_space:  global
        .offset:         0
        .size:           8
        .value_kind:     global_buffer
      - .offset:         8
        .size:           4
        .value_kind:     by_value
    .group_segment_fixed_size: 1024
    .kernarg_segment_align: 8
    .kernarg_segment_size: 12
    .language:       OpenCL C
    .language_version:
      - 2
      - 0
    .max_flat_workgroup_size: 256
    .name:           _Z20warp_exchange_kernelILj256ELj1ELj16E18ScatterToStripedOpiEvPT3_j
    .private_segment_fixed_size: 0
    .sgpr_count:     18
    .sgpr_spill_count: 0
    .symbol:         _Z20warp_exchange_kernelILj256ELj1ELj16E18ScatterToStripedOpiEvPT3_j.kd
    .uniform_work_group_size: 1
    .uses_dynamic_stack: false
    .vgpr_count:     5
    .vgpr_spill_count: 0
    .wavefront_size: 32
    .workgroup_processor_mode: 1
  - .args:
      - .address_space:  global
        .offset:         0
        .size:           8
        .value_kind:     global_buffer
      - .offset:         8
        .size:           4
        .value_kind:     by_value
    .group_segment_fixed_size: 1024
    .kernarg_segment_align: 8
    .kernarg_segment_size: 12
    .language:       OpenCL C
    .language_version:
      - 2
      - 0
    .max_flat_workgroup_size: 256
    .name:           _Z20warp_exchange_kernelILj256ELj1ELj32E18ScatterToStripedOpiEvPT3_j
    .private_segment_fixed_size: 0
    .sgpr_count:     18
    .sgpr_spill_count: 0
    .symbol:         _Z20warp_exchange_kernelILj256ELj1ELj32E18ScatterToStripedOpiEvPT3_j.kd
    .uniform_work_group_size: 1
    .uses_dynamic_stack: false
    .vgpr_count:     5
    .vgpr_spill_count: 0
    .wavefront_size: 32
    .workgroup_processor_mode: 1
  - .args:
      - .address_space:  global
        .offset:         0
        .size:           8
        .value_kind:     global_buffer
      - .offset:         8
        .size:           4
        .value_kind:     by_value
    .group_segment_fixed_size: 4096
    .kernarg_segment_align: 8
    .kernarg_segment_size: 12
    .language:       OpenCL C
    .language_version:
      - 2
      - 0
    .max_flat_workgroup_size: 256
    .name:           _Z20warp_exchange_kernelILj256ELj4ELj16E18ScatterToStripedOpiEvPT3_j
    .private_segment_fixed_size: 0
    .sgpr_count:     18
    .sgpr_spill_count: 0
    .symbol:         _Z20warp_exchange_kernelILj256ELj4ELj16E18ScatterToStripedOpiEvPT3_j.kd
    .uniform_work_group_size: 1
    .uses_dynamic_stack: false
    .vgpr_count:     9
    .vgpr_spill_count: 0
    .wavefront_size: 32
    .workgroup_processor_mode: 1
  - .args:
      - .address_space:  global
        .offset:         0
        .size:           8
        .value_kind:     global_buffer
      - .offset:         8
        .size:           4
        .value_kind:     by_value
    .group_segment_fixed_size: 4096
    .kernarg_segment_align: 8
    .kernarg_segment_size: 12
    .language:       OpenCL C
    .language_version:
      - 2
      - 0
    .max_flat_workgroup_size: 256
    .name:           _Z20warp_exchange_kernelILj256ELj4ELj32E18ScatterToStripedOpiEvPT3_j
    .private_segment_fixed_size: 0
    .sgpr_count:     18
    .sgpr_spill_count: 0
    .symbol:         _Z20warp_exchange_kernelILj256ELj4ELj32E18ScatterToStripedOpiEvPT3_j.kd
    .uniform_work_group_size: 1
    .uses_dynamic_stack: false
    .vgpr_count:     8
    .vgpr_spill_count: 0
    .wavefront_size: 32
    .workgroup_processor_mode: 1
  - .args:
      - .address_space:  global
        .offset:         0
        .size:           8
        .value_kind:     global_buffer
      - .offset:         8
        .size:           4
        .value_kind:     by_value
    .group_segment_fixed_size: 16384
    .kernarg_segment_align: 8
    .kernarg_segment_size: 12
    .language:       OpenCL C
    .language_version:
      - 2
      - 0
    .max_flat_workgroup_size: 256
    .name:           _Z20warp_exchange_kernelILj256ELj16ELj16E18ScatterToStripedOpiEvPT3_j
    .private_segment_fixed_size: 0
    .sgpr_count:     18
    .sgpr_spill_count: 0
    .symbol:         _Z20warp_exchange_kernelILj256ELj16ELj16E18ScatterToStripedOpiEvPT3_j.kd
    .uniform_work_group_size: 1
    .uses_dynamic_stack: false
    .vgpr_count:     21
    .vgpr_spill_count: 0
    .wavefront_size: 32
    .workgroup_processor_mode: 1
  - .args:
      - .address_space:  global
        .offset:         0
        .size:           8
        .value_kind:     global_buffer
      - .offset:         8
        .size:           4
        .value_kind:     by_value
    .group_segment_fixed_size: 16384
    .kernarg_segment_align: 8
    .kernarg_segment_size: 12
    .language:       OpenCL C
    .language_version:
      - 2
      - 0
    .max_flat_workgroup_size: 256
    .name:           _Z20warp_exchange_kernelILj256ELj16ELj32E18ScatterToStripedOpiEvPT3_j
    .private_segment_fixed_size: 0
    .sgpr_count:     18
    .sgpr_spill_count: 0
    .symbol:         _Z20warp_exchange_kernelILj256ELj16ELj32E18ScatterToStripedOpiEvPT3_j.kd
    .uniform_work_group_size: 1
    .uses_dynamic_stack: false
    .vgpr_count:     21
    .vgpr_spill_count: 0
    .wavefront_size: 32
    .workgroup_processor_mode: 1
  - .args:
      - .address_space:  global
        .offset:         0
        .size:           8
        .value_kind:     global_buffer
      - .offset:         8
        .size:           4
        .value_kind:     by_value
    .group_segment_fixed_size: 4096
    .kernarg_segment_align: 8
    .kernarg_segment_size: 12
    .language:       OpenCL C
    .language_version:
      - 2
      - 0
    .max_flat_workgroup_size: 256
    .name:           _Z20warp_exchange_kernelILj256ELj1ELj16EN6common18BlockedToStripedOpEnEvPT3_j
    .private_segment_fixed_size: 0
    .sgpr_count:     18
    .sgpr_spill_count: 0
    .symbol:         _Z20warp_exchange_kernelILj256ELj1ELj16EN6common18BlockedToStripedOpEnEvPT3_j.kd
    .uniform_work_group_size: 1
    .uses_dynamic_stack: false
    .vgpr_count:     7
    .vgpr_spill_count: 0
    .wavefront_size: 32
    .workgroup_processor_mode: 1
  - .args:
      - .address_space:  global
        .offset:         0
        .size:           8
        .value_kind:     global_buffer
      - .offset:         8
        .size:           4
        .value_kind:     by_value
    .group_segment_fixed_size: 4096
    .kernarg_segment_align: 8
    .kernarg_segment_size: 12
    .language:       OpenCL C
    .language_version:
      - 2
      - 0
    .max_flat_workgroup_size: 256
    .name:           _Z20warp_exchange_kernelILj256ELj1ELj32EN6common18BlockedToStripedOpEnEvPT3_j
    .private_segment_fixed_size: 0
    .sgpr_count:     18
    .sgpr_spill_count: 0
    .symbol:         _Z20warp_exchange_kernelILj256ELj1ELj32EN6common18BlockedToStripedOpEnEvPT3_j.kd
    .uniform_work_group_size: 1
    .uses_dynamic_stack: false
    .vgpr_count:     7
    .vgpr_spill_count: 0
    .wavefront_size: 32
    .workgroup_processor_mode: 1
  - .args:
      - .address_space:  global
        .offset:         0
        .size:           8
        .value_kind:     global_buffer
      - .offset:         8
        .size:           4
        .value_kind:     by_value
    .group_segment_fixed_size: 16384
    .kernarg_segment_align: 8
    .kernarg_segment_size: 12
    .language:       OpenCL C
    .language_version:
      - 2
      - 0
    .max_flat_workgroup_size: 256
    .name:           _Z20warp_exchange_kernelILj256ELj4ELj16EN6common18BlockedToStripedOpEnEvPT3_j
    .private_segment_fixed_size: 0
    .sgpr_count:     18
    .sgpr_spill_count: 0
    .symbol:         _Z20warp_exchange_kernelILj256ELj4ELj16EN6common18BlockedToStripedOpEnEvPT3_j.kd
    .uniform_work_group_size: 1
    .uses_dynamic_stack: false
    .vgpr_count:     20
    .vgpr_spill_count: 0
    .wavefront_size: 32
    .workgroup_processor_mode: 1
  - .args:
      - .address_space:  global
        .offset:         0
        .size:           8
        .value_kind:     global_buffer
      - .offset:         8
        .size:           4
        .value_kind:     by_value
    .group_segment_fixed_size: 16384
    .kernarg_segment_align: 8
    .kernarg_segment_size: 12
    .language:       OpenCL C
    .language_version:
      - 2
      - 0
    .max_flat_workgroup_size: 256
    .name:           _Z20warp_exchange_kernelILj256ELj4ELj32EN6common18BlockedToStripedOpEnEvPT3_j
    .private_segment_fixed_size: 0
    .sgpr_count:     18
    .sgpr_spill_count: 0
    .symbol:         _Z20warp_exchange_kernelILj256ELj4ELj32EN6common18BlockedToStripedOpEnEvPT3_j.kd
    .uniform_work_group_size: 1
    .uses_dynamic_stack: false
    .vgpr_count:     20
    .vgpr_spill_count: 0
    .wavefront_size: 32
    .workgroup_processor_mode: 1
  - .args:
      - .address_space:  global
        .offset:         0
        .size:           8
        .value_kind:     global_buffer
      - .offset:         8
        .size:           4
        .value_kind:     by_value
    .group_segment_fixed_size: 65536
    .kernarg_segment_align: 8
    .kernarg_segment_size: 12
    .language:       OpenCL C
    .language_version:
      - 2
      - 0
    .max_flat_workgroup_size: 256
    .name:           _Z20warp_exchange_kernelILj256ELj16ELj16EN6common18BlockedToStripedOpEnEvPT3_j
    .private_segment_fixed_size: 0
    .sgpr_count:     18
    .sgpr_spill_count: 0
    .symbol:         _Z20warp_exchange_kernelILj256ELj16ELj16EN6common18BlockedToStripedOpEnEvPT3_j.kd
    .uniform_work_group_size: 1
    .uses_dynamic_stack: false
    .vgpr_count:     68
    .vgpr_spill_count: 0
    .wavefront_size: 32
    .workgroup_processor_mode: 1
  - .args:
      - .address_space:  global
        .offset:         0
        .size:           8
        .value_kind:     global_buffer
      - .offset:         8
        .size:           4
        .value_kind:     by_value
    .group_segment_fixed_size: 65536
    .kernarg_segment_align: 8
    .kernarg_segment_size: 12
    .language:       OpenCL C
    .language_version:
      - 2
      - 0
    .max_flat_workgroup_size: 256
    .name:           _Z20warp_exchange_kernelILj256ELj16ELj32EN6common18BlockedToStripedOpEnEvPT3_j
    .private_segment_fixed_size: 0
    .sgpr_count:     18
    .sgpr_spill_count: 0
    .symbol:         _Z20warp_exchange_kernelILj256ELj16ELj32EN6common18BlockedToStripedOpEnEvPT3_j.kd
    .uniform_work_group_size: 1
    .uses_dynamic_stack: false
    .vgpr_count:     68
    .vgpr_spill_count: 0
    .wavefront_size: 32
    .workgroup_processor_mode: 1
  - .args:
      - .address_space:  global
        .offset:         0
        .size:           8
        .value_kind:     global_buffer
      - .offset:         8
        .size:           4
        .value_kind:     by_value
    .group_segment_fixed_size: 4096
    .kernarg_segment_align: 8
    .kernarg_segment_size: 12
    .language:       OpenCL C
    .language_version:
      - 2
      - 0
    .max_flat_workgroup_size: 256
    .name:           _Z20warp_exchange_kernelILj256ELj1ELj16EN6common18StripedToBlockedOpEnEvPT3_j
    .private_segment_fixed_size: 0
    .sgpr_count:     18
    .sgpr_spill_count: 0
    .symbol:         _Z20warp_exchange_kernelILj256ELj1ELj16EN6common18StripedToBlockedOpEnEvPT3_j.kd
    .uniform_work_group_size: 1
    .uses_dynamic_stack: false
    .vgpr_count:     7
    .vgpr_spill_count: 0
    .wavefront_size: 32
    .workgroup_processor_mode: 1
  - .args:
      - .address_space:  global
        .offset:         0
        .size:           8
        .value_kind:     global_buffer
      - .offset:         8
        .size:           4
        .value_kind:     by_value
    .group_segment_fixed_size: 4096
    .kernarg_segment_align: 8
    .kernarg_segment_size: 12
    .language:       OpenCL C
    .language_version:
      - 2
      - 0
    .max_flat_workgroup_size: 256
    .name:           _Z20warp_exchange_kernelILj256ELj1ELj32EN6common18StripedToBlockedOpEnEvPT3_j
    .private_segment_fixed_size: 0
    .sgpr_count:     18
    .sgpr_spill_count: 0
    .symbol:         _Z20warp_exchange_kernelILj256ELj1ELj32EN6common18StripedToBlockedOpEnEvPT3_j.kd
    .uniform_work_group_size: 1
    .uses_dynamic_stack: false
    .vgpr_count:     7
    .vgpr_spill_count: 0
    .wavefront_size: 32
    .workgroup_processor_mode: 1
  - .args:
      - .address_space:  global
        .offset:         0
        .size:           8
        .value_kind:     global_buffer
      - .offset:         8
        .size:           4
        .value_kind:     by_value
    .group_segment_fixed_size: 16384
    .kernarg_segment_align: 8
    .kernarg_segment_size: 12
    .language:       OpenCL C
    .language_version:
      - 2
      - 0
    .max_flat_workgroup_size: 256
    .name:           _Z20warp_exchange_kernelILj256ELj4ELj16EN6common18StripedToBlockedOpEnEvPT3_j
    .private_segment_fixed_size: 0
    .sgpr_count:     18
    .sgpr_spill_count: 0
    .symbol:         _Z20warp_exchange_kernelILj256ELj4ELj16EN6common18StripedToBlockedOpEnEvPT3_j.kd
    .uniform_work_group_size: 1
    .uses_dynamic_stack: false
    .vgpr_count:     20
    .vgpr_spill_count: 0
    .wavefront_size: 32
    .workgroup_processor_mode: 1
  - .args:
      - .address_space:  global
        .offset:         0
        .size:           8
        .value_kind:     global_buffer
      - .offset:         8
        .size:           4
        .value_kind:     by_value
    .group_segment_fixed_size: 16384
    .kernarg_segment_align: 8
    .kernarg_segment_size: 12
    .language:       OpenCL C
    .language_version:
      - 2
      - 0
    .max_flat_workgroup_size: 256
    .name:           _Z20warp_exchange_kernelILj256ELj4ELj32EN6common18StripedToBlockedOpEnEvPT3_j
    .private_segment_fixed_size: 0
    .sgpr_count:     18
    .sgpr_spill_count: 0
    .symbol:         _Z20warp_exchange_kernelILj256ELj4ELj32EN6common18StripedToBlockedOpEnEvPT3_j.kd
    .uniform_work_group_size: 1
    .uses_dynamic_stack: false
    .vgpr_count:     20
    .vgpr_spill_count: 0
    .wavefront_size: 32
    .workgroup_processor_mode: 1
  - .args:
      - .address_space:  global
        .offset:         0
        .size:           8
        .value_kind:     global_buffer
      - .offset:         8
        .size:           4
        .value_kind:     by_value
    .group_segment_fixed_size: 65536
    .kernarg_segment_align: 8
    .kernarg_segment_size: 12
    .language:       OpenCL C
    .language_version:
      - 2
      - 0
    .max_flat_workgroup_size: 256
    .name:           _Z20warp_exchange_kernelILj256ELj16ELj16EN6common18StripedToBlockedOpEnEvPT3_j
    .private_segment_fixed_size: 0
    .sgpr_count:     18
    .sgpr_spill_count: 0
    .symbol:         _Z20warp_exchange_kernelILj256ELj16ELj16EN6common18StripedToBlockedOpEnEvPT3_j.kd
    .uniform_work_group_size: 1
    .uses_dynamic_stack: false
    .vgpr_count:     68
    .vgpr_spill_count: 0
    .wavefront_size: 32
    .workgroup_processor_mode: 1
  - .args:
      - .address_space:  global
        .offset:         0
        .size:           8
        .value_kind:     global_buffer
      - .offset:         8
        .size:           4
        .value_kind:     by_value
    .group_segment_fixed_size: 65536
    .kernarg_segment_align: 8
    .kernarg_segment_size: 12
    .language:       OpenCL C
    .language_version:
      - 2
      - 0
    .max_flat_workgroup_size: 256
    .name:           _Z20warp_exchange_kernelILj256ELj16ELj32EN6common18StripedToBlockedOpEnEvPT3_j
    .private_segment_fixed_size: 0
    .sgpr_count:     18
    .sgpr_spill_count: 0
    .symbol:         _Z20warp_exchange_kernelILj256ELj16ELj32EN6common18StripedToBlockedOpEnEvPT3_j.kd
    .uniform_work_group_size: 1
    .uses_dynamic_stack: false
    .vgpr_count:     68
    .vgpr_spill_count: 0
    .wavefront_size: 32
    .workgroup_processor_mode: 1
  - .args:
      - .address_space:  global
        .offset:         0
        .size:           8
        .value_kind:     global_buffer
      - .offset:         8
        .size:           4
        .value_kind:     by_value
    .group_segment_fixed_size: 0
    .kernarg_segment_align: 8
    .kernarg_segment_size: 12
    .language:       OpenCL C
    .language_version:
      - 2
      - 0
    .max_flat_workgroup_size: 256
    .name:           _Z20warp_exchange_kernelILj256ELj1ELj16EN6common25BlockedToStripedShuffleOpEnEvPT3_j
    .private_segment_fixed_size: 0
    .sgpr_count:     18
    .sgpr_spill_count: 0
    .symbol:         _Z20warp_exchange_kernelILj256ELj1ELj16EN6common25BlockedToStripedShuffleOpEnEvPT3_j.kd
    .uniform_work_group_size: 1
    .uses_dynamic_stack: false
    .vgpr_count:     7
    .vgpr_spill_count: 0
    .wavefront_size: 32
    .workgroup_processor_mode: 1
  - .args:
      - .address_space:  global
        .offset:         0
        .size:           8
        .value_kind:     global_buffer
      - .offset:         8
        .size:           4
        .value_kind:     by_value
    .group_segment_fixed_size: 0
    .kernarg_segment_align: 8
    .kernarg_segment_size: 12
    .language:       OpenCL C
    .language_version:
      - 2
      - 0
    .max_flat_workgroup_size: 256
    .name:           _Z20warp_exchange_kernelILj256ELj1ELj32EN6common25BlockedToStripedShuffleOpEnEvPT3_j
    .private_segment_fixed_size: 0
    .sgpr_count:     18
    .sgpr_spill_count: 0
    .symbol:         _Z20warp_exchange_kernelILj256ELj1ELj32EN6common25BlockedToStripedShuffleOpEnEvPT3_j.kd
    .uniform_work_group_size: 1
    .uses_dynamic_stack: false
    .vgpr_count:     7
    .vgpr_spill_count: 0
    .wavefront_size: 32
    .workgroup_processor_mode: 1
  - .args:
      - .address_space:  global
        .offset:         0
        .size:           8
        .value_kind:     global_buffer
      - .offset:         8
        .size:           4
        .value_kind:     by_value
    .group_segment_fixed_size: 0
    .kernarg_segment_align: 8
    .kernarg_segment_size: 12
    .language:       OpenCL C
    .language_version:
      - 2
      - 0
    .max_flat_workgroup_size: 256
    .name:           _Z20warp_exchange_kernelILj256ELj4ELj16EN6common25BlockedToStripedShuffleOpEnEvPT3_j
    .private_segment_fixed_size: 0
    .sgpr_count:     29
    .sgpr_spill_count: 0
    .symbol:         _Z20warp_exchange_kernelILj256ELj4ELj16EN6common25BlockedToStripedShuffleOpEnEvPT3_j.kd
    .uniform_work_group_size: 1
    .uses_dynamic_stack: false
    .vgpr_count:     36
    .vgpr_spill_count: 0
    .wavefront_size: 32
    .workgroup_processor_mode: 1
  - .args:
      - .address_space:  global
        .offset:         0
        .size:           8
        .value_kind:     global_buffer
      - .offset:         8
        .size:           4
        .value_kind:     by_value
    .group_segment_fixed_size: 0
    .kernarg_segment_align: 8
    .kernarg_segment_size: 12
    .language:       OpenCL C
    .language_version:
      - 2
      - 0
    .max_flat_workgroup_size: 256
    .name:           _Z20warp_exchange_kernelILj256ELj4ELj32EN6common25BlockedToStripedShuffleOpEnEvPT3_j
    .private_segment_fixed_size: 0
    .sgpr_count:     18
    .sgpr_spill_count: 0
    .symbol:         _Z20warp_exchange_kernelILj256ELj4ELj32EN6common25BlockedToStripedShuffleOpEnEvPT3_j.kd
    .uniform_work_group_size: 1
    .uses_dynamic_stack: false
    .vgpr_count:     37
    .vgpr_spill_count: 0
    .wavefront_size: 32
    .workgroup_processor_mode: 1
  - .args:
      - .address_space:  global
        .offset:         0
        .size:           8
        .value_kind:     global_buffer
      - .offset:         8
        .size:           4
        .value_kind:     by_value
    .group_segment_fixed_size: 0
    .kernarg_segment_align: 8
    .kernarg_segment_size: 12
    .language:       OpenCL C
    .language_version:
      - 2
      - 0
    .max_flat_workgroup_size: 256
    .name:           _Z20warp_exchange_kernelILj256ELj16ELj16EN6common25BlockedToStripedShuffleOpEnEvPT3_j
    .private_segment_fixed_size: 272
    .sgpr_count:     18
    .sgpr_spill_count: 0
    .symbol:         _Z20warp_exchange_kernelILj256ELj16ELj16EN6common25BlockedToStripedShuffleOpEnEvPT3_j.kd
    .uniform_work_group_size: 1
    .uses_dynamic_stack: false
    .vgpr_count:     101
    .vgpr_spill_count: 0
    .wavefront_size: 32
    .workgroup_processor_mode: 1
  - .args:
      - .address_space:  global
        .offset:         0
        .size:           8
        .value_kind:     global_buffer
      - .offset:         8
        .size:           4
        .value_kind:     by_value
    .group_segment_fixed_size: 0
    .kernarg_segment_align: 8
    .kernarg_segment_size: 12
    .language:       OpenCL C
    .language_version:
      - 2
      - 0
    .max_flat_workgroup_size: 256
    .name:           _Z20warp_exchange_kernelILj256ELj16ELj32EN6common25BlockedToStripedShuffleOpEnEvPT3_j
    .private_segment_fixed_size: 528
    .sgpr_count:     18
    .sgpr_spill_count: 0
    .symbol:         _Z20warp_exchange_kernelILj256ELj16ELj32EN6common25BlockedToStripedShuffleOpEnEvPT3_j.kd
    .uniform_work_group_size: 1
    .uses_dynamic_stack: false
    .vgpr_count:     101
    .vgpr_spill_count: 0
    .wavefront_size: 32
    .workgroup_processor_mode: 1
  - .args:
      - .address_space:  global
        .offset:         0
        .size:           8
        .value_kind:     global_buffer
      - .offset:         8
        .size:           4
        .value_kind:     by_value
    .group_segment_fixed_size: 0
    .kernarg_segment_align: 8
    .kernarg_segment_size: 12
    .language:       OpenCL C
    .language_version:
      - 2
      - 0
    .max_flat_workgroup_size: 256
    .name:           _Z20warp_exchange_kernelILj256ELj1ELj16EN6common25StripedToBlockedShuffleOpEnEvPT3_j
    .private_segment_fixed_size: 0
    .sgpr_count:     18
    .sgpr_spill_count: 0
    .symbol:         _Z20warp_exchange_kernelILj256ELj1ELj16EN6common25StripedToBlockedShuffleOpEnEvPT3_j.kd
    .uniform_work_group_size: 1
    .uses_dynamic_stack: false
    .vgpr_count:     7
    .vgpr_spill_count: 0
    .wavefront_size: 32
    .workgroup_processor_mode: 1
  - .args:
      - .address_space:  global
        .offset:         0
        .size:           8
        .value_kind:     global_buffer
      - .offset:         8
        .size:           4
        .value_kind:     by_value
    .group_segment_fixed_size: 0
    .kernarg_segment_align: 8
    .kernarg_segment_size: 12
    .language:       OpenCL C
    .language_version:
      - 2
      - 0
    .max_flat_workgroup_size: 256
    .name:           _Z20warp_exchange_kernelILj256ELj1ELj32EN6common25StripedToBlockedShuffleOpEnEvPT3_j
    .private_segment_fixed_size: 0
    .sgpr_count:     18
    .sgpr_spill_count: 0
    .symbol:         _Z20warp_exchange_kernelILj256ELj1ELj32EN6common25StripedToBlockedShuffleOpEnEvPT3_j.kd
    .uniform_work_group_size: 1
    .uses_dynamic_stack: false
    .vgpr_count:     7
    .vgpr_spill_count: 0
    .wavefront_size: 32
    .workgroup_processor_mode: 1
  - .args:
      - .address_space:  global
        .offset:         0
        .size:           8
        .value_kind:     global_buffer
      - .offset:         8
        .size:           4
        .value_kind:     by_value
    .group_segment_fixed_size: 16384
    .kernarg_segment_align: 8
    .kernarg_segment_size: 12
    .language:       OpenCL C
    .language_version:
      - 2
      - 0
    .max_flat_workgroup_size: 256
    .name:           _Z20warp_exchange_kernelILj256ELj4ELj16EN6common25StripedToBlockedShuffleOpEnEvPT3_j
    .private_segment_fixed_size: 80
    .sgpr_count:     18
    .sgpr_spill_count: 0
    .symbol:         _Z20warp_exchange_kernelILj256ELj4ELj16EN6common25StripedToBlockedShuffleOpEnEvPT3_j.kd
    .uniform_work_group_size: 1
    .uses_dynamic_stack: false
    .vgpr_count:     42
    .vgpr_spill_count: 0
    .wavefront_size: 32
    .workgroup_processor_mode: 1
  - .args:
      - .address_space:  global
        .offset:         0
        .size:           8
        .value_kind:     global_buffer
      - .offset:         8
        .size:           4
        .value_kind:     by_value
    .group_segment_fixed_size: 0
    .kernarg_segment_align: 8
    .kernarg_segment_size: 12
    .language:       OpenCL C
    .language_version:
      - 2
      - 0
    .max_flat_workgroup_size: 256
    .name:           _Z20warp_exchange_kernelILj256ELj4ELj32EN6common25StripedToBlockedShuffleOpEnEvPT3_j
    .private_segment_fixed_size: 0
    .sgpr_count:     18
    .sgpr_spill_count: 0
    .symbol:         _Z20warp_exchange_kernelILj256ELj4ELj32EN6common25StripedToBlockedShuffleOpEnEvPT3_j.kd
    .uniform_work_group_size: 1
    .uses_dynamic_stack: false
    .vgpr_count:     37
    .vgpr_spill_count: 0
    .wavefront_size: 32
    .workgroup_processor_mode: 1
  - .args:
      - .address_space:  global
        .offset:         0
        .size:           8
        .value_kind:     global_buffer
      - .offset:         8
        .size:           4
        .value_kind:     by_value
    .group_segment_fixed_size: 0
    .kernarg_segment_align: 8
    .kernarg_segment_size: 12
    .language:       OpenCL C
    .language_version:
      - 2
      - 0
    .max_flat_workgroup_size: 256
    .name:           _Z20warp_exchange_kernelILj256ELj16ELj16EN6common25StripedToBlockedShuffleOpEnEvPT3_j
    .private_segment_fixed_size: 272
    .sgpr_count:     18
    .sgpr_spill_count: 0
    .symbol:         _Z20warp_exchange_kernelILj256ELj16ELj16EN6common25StripedToBlockedShuffleOpEnEvPT3_j.kd
    .uniform_work_group_size: 1
    .uses_dynamic_stack: false
    .vgpr_count:     101
    .vgpr_spill_count: 0
    .wavefront_size: 32
    .workgroup_processor_mode: 1
  - .args:
      - .address_space:  global
        .offset:         0
        .size:           8
        .value_kind:     global_buffer
      - .offset:         8
        .size:           4
        .value_kind:     by_value
    .group_segment_fixed_size: 0
    .kernarg_segment_align: 8
    .kernarg_segment_size: 12
    .language:       OpenCL C
    .language_version:
      - 2
      - 0
    .max_flat_workgroup_size: 256
    .name:           _Z20warp_exchange_kernelILj256ELj16ELj32EN6common25StripedToBlockedShuffleOpEnEvPT3_j
    .private_segment_fixed_size: 528
    .sgpr_count:     18
    .sgpr_spill_count: 0
    .symbol:         _Z20warp_exchange_kernelILj256ELj16ELj32EN6common25StripedToBlockedShuffleOpEnEvPT3_j.kd
    .uniform_work_group_size: 1
    .uses_dynamic_stack: false
    .vgpr_count:     114
    .vgpr_spill_count: 0
    .wavefront_size: 32
    .workgroup_processor_mode: 1
  - .args:
      - .address_space:  global
        .offset:         0
        .size:           8
        .value_kind:     global_buffer
      - .offset:         8
        .size:           4
        .value_kind:     by_value
    .group_segment_fixed_size: 4096
    .kernarg_segment_align: 8
    .kernarg_segment_size: 12
    .language:       OpenCL C
    .language_version:
      - 2
      - 0
    .max_flat_workgroup_size: 256
    .name:           _Z20warp_exchange_kernelILj256ELj1ELj16E18ScatterToStripedOpnEvPT3_j
    .private_segment_fixed_size: 0
    .sgpr_count:     18
    .sgpr_spill_count: 0
    .symbol:         _Z20warp_exchange_kernelILj256ELj1ELj16E18ScatterToStripedOpnEvPT3_j.kd
    .uniform_work_group_size: 1
    .uses_dynamic_stack: false
    .vgpr_count:     8
    .vgpr_spill_count: 0
    .wavefront_size: 32
    .workgroup_processor_mode: 1
  - .args:
      - .address_space:  global
        .offset:         0
        .size:           8
        .value_kind:     global_buffer
      - .offset:         8
        .size:           4
        .value_kind:     by_value
    .group_segment_fixed_size: 4096
    .kernarg_segment_align: 8
    .kernarg_segment_size: 12
    .language:       OpenCL C
    .language_version:
      - 2
      - 0
    .max_flat_workgroup_size: 256
    .name:           _Z20warp_exchange_kernelILj256ELj1ELj32E18ScatterToStripedOpnEvPT3_j
    .private_segment_fixed_size: 0
    .sgpr_count:     18
    .sgpr_spill_count: 0
    .symbol:         _Z20warp_exchange_kernelILj256ELj1ELj32E18ScatterToStripedOpnEvPT3_j.kd
    .uniform_work_group_size: 1
    .uses_dynamic_stack: false
    .vgpr_count:     8
    .vgpr_spill_count: 0
    .wavefront_size: 32
    .workgroup_processor_mode: 1
  - .args:
      - .address_space:  global
        .offset:         0
        .size:           8
        .value_kind:     global_buffer
      - .offset:         8
        .size:           4
        .value_kind:     by_value
    .group_segment_fixed_size: 16384
    .kernarg_segment_align: 8
    .kernarg_segment_size: 12
    .language:       OpenCL C
    .language_version:
      - 2
      - 0
    .max_flat_workgroup_size: 256
    .name:           _Z20warp_exchange_kernelILj256ELj4ELj16E18ScatterToStripedOpnEvPT3_j
    .private_segment_fixed_size: 0
    .sgpr_count:     18
    .sgpr_spill_count: 0
    .symbol:         _Z20warp_exchange_kernelILj256ELj4ELj16E18ScatterToStripedOpnEvPT3_j.kd
    .uniform_work_group_size: 1
    .uses_dynamic_stack: false
    .vgpr_count:     21
    .vgpr_spill_count: 0
    .wavefront_size: 32
    .workgroup_processor_mode: 1
  - .args:
      - .address_space:  global
        .offset:         0
        .size:           8
        .value_kind:     global_buffer
      - .offset:         8
        .size:           4
        .value_kind:     by_value
    .group_segment_fixed_size: 16384
    .kernarg_segment_align: 8
    .kernarg_segment_size: 12
    .language:       OpenCL C
    .language_version:
      - 2
      - 0
    .max_flat_workgroup_size: 256
    .name:           _Z20warp_exchange_kernelILj256ELj4ELj32E18ScatterToStripedOpnEvPT3_j
    .private_segment_fixed_size: 0
    .sgpr_count:     18
    .sgpr_spill_count: 0
    .symbol:         _Z20warp_exchange_kernelILj256ELj4ELj32E18ScatterToStripedOpnEvPT3_j.kd
    .uniform_work_group_size: 1
    .uses_dynamic_stack: false
    .vgpr_count:     21
    .vgpr_spill_count: 0
    .wavefront_size: 32
    .workgroup_processor_mode: 1
  - .args:
      - .address_space:  global
        .offset:         0
        .size:           8
        .value_kind:     global_buffer
      - .offset:         8
        .size:           4
        .value_kind:     by_value
    .group_segment_fixed_size: 65536
    .kernarg_segment_align: 8
    .kernarg_segment_size: 12
    .language:       OpenCL C
    .language_version:
      - 2
      - 0
    .max_flat_workgroup_size: 256
    .name:           _Z20warp_exchange_kernelILj256ELj16ELj16E18ScatterToStripedOpnEvPT3_j
    .private_segment_fixed_size: 0
    .sgpr_count:     18
    .sgpr_spill_count: 0
    .symbol:         _Z20warp_exchange_kernelILj256ELj16ELj16E18ScatterToStripedOpnEvPT3_j.kd
    .uniform_work_group_size: 1
    .uses_dynamic_stack: false
    .vgpr_count:     69
    .vgpr_spill_count: 0
    .wavefront_size: 32
    .workgroup_processor_mode: 1
  - .args:
      - .address_space:  global
        .offset:         0
        .size:           8
        .value_kind:     global_buffer
      - .offset:         8
        .size:           4
        .value_kind:     by_value
    .group_segment_fixed_size: 65536
    .kernarg_segment_align: 8
    .kernarg_segment_size: 12
    .language:       OpenCL C
    .language_version:
      - 2
      - 0
    .max_flat_workgroup_size: 256
    .name:           _Z20warp_exchange_kernelILj256ELj16ELj32E18ScatterToStripedOpnEvPT3_j
    .private_segment_fixed_size: 0
    .sgpr_count:     18
    .sgpr_spill_count: 0
    .symbol:         _Z20warp_exchange_kernelILj256ELj16ELj32E18ScatterToStripedOpnEvPT3_j.kd
    .uniform_work_group_size: 1
    .uses_dynamic_stack: false
    .vgpr_count:     69
    .vgpr_spill_count: 0
    .wavefront_size: 32
    .workgroup_processor_mode: 1
  - .args:
      - .address_space:  global
        .offset:         0
        .size:           8
        .value_kind:     global_buffer
      - .offset:         8
        .size:           4
        .value_kind:     by_value
    .group_segment_fixed_size: 4096
    .kernarg_segment_align: 8
    .kernarg_segment_size: 12
    .language:       OpenCL C
    .language_version:
      - 2
      - 0
    .max_flat_workgroup_size: 256
    .name:           _Z20warp_exchange_kernelILj256ELj1ELj16EN6common18BlockedToStripedOpEoEvPT3_j
    .private_segment_fixed_size: 0
    .sgpr_count:     18
    .sgpr_spill_count: 0
    .symbol:         _Z20warp_exchange_kernelILj256ELj1ELj16EN6common18BlockedToStripedOpEoEvPT3_j.kd
    .uniform_work_group_size: 1
    .uses_dynamic_stack: false
    .vgpr_count:     7
    .vgpr_spill_count: 0
    .wavefront_size: 32
    .workgroup_processor_mode: 1
  - .args:
      - .address_space:  global
        .offset:         0
        .size:           8
        .value_kind:     global_buffer
      - .offset:         8
        .size:           4
        .value_kind:     by_value
    .group_segment_fixed_size: 4096
    .kernarg_segment_align: 8
    .kernarg_segment_size: 12
    .language:       OpenCL C
    .language_version:
      - 2
      - 0
    .max_flat_workgroup_size: 256
    .name:           _Z20warp_exchange_kernelILj256ELj1ELj32EN6common18BlockedToStripedOpEoEvPT3_j
    .private_segment_fixed_size: 0
    .sgpr_count:     18
    .sgpr_spill_count: 0
    .symbol:         _Z20warp_exchange_kernelILj256ELj1ELj32EN6common18BlockedToStripedOpEoEvPT3_j.kd
    .uniform_work_group_size: 1
    .uses_dynamic_stack: false
    .vgpr_count:     7
    .vgpr_spill_count: 0
    .wavefront_size: 32
    .workgroup_processor_mode: 1
  - .args:
      - .address_space:  global
        .offset:         0
        .size:           8
        .value_kind:     global_buffer
      - .offset:         8
        .size:           4
        .value_kind:     by_value
    .group_segment_fixed_size: 16384
    .kernarg_segment_align: 8
    .kernarg_segment_size: 12
    .language:       OpenCL C
    .language_version:
      - 2
      - 0
    .max_flat_workgroup_size: 256
    .name:           _Z20warp_exchange_kernelILj256ELj4ELj16EN6common18BlockedToStripedOpEoEvPT3_j
    .private_segment_fixed_size: 0
    .sgpr_count:     18
    .sgpr_spill_count: 0
    .symbol:         _Z20warp_exchange_kernelILj256ELj4ELj16EN6common18BlockedToStripedOpEoEvPT3_j.kd
    .uniform_work_group_size: 1
    .uses_dynamic_stack: false
    .vgpr_count:     20
    .vgpr_spill_count: 0
    .wavefront_size: 32
    .workgroup_processor_mode: 1
  - .args:
      - .address_space:  global
        .offset:         0
        .size:           8
        .value_kind:     global_buffer
      - .offset:         8
        .size:           4
        .value_kind:     by_value
    .group_segment_fixed_size: 16384
    .kernarg_segment_align: 8
    .kernarg_segment_size: 12
    .language:       OpenCL C
    .language_version:
      - 2
      - 0
    .max_flat_workgroup_size: 256
    .name:           _Z20warp_exchange_kernelILj256ELj4ELj32EN6common18BlockedToStripedOpEoEvPT3_j
    .private_segment_fixed_size: 0
    .sgpr_count:     18
    .sgpr_spill_count: 0
    .symbol:         _Z20warp_exchange_kernelILj256ELj4ELj32EN6common18BlockedToStripedOpEoEvPT3_j.kd
    .uniform_work_group_size: 1
    .uses_dynamic_stack: false
    .vgpr_count:     20
    .vgpr_spill_count: 0
    .wavefront_size: 32
    .workgroup_processor_mode: 1
  - .args:
      - .address_space:  global
        .offset:         0
        .size:           8
        .value_kind:     global_buffer
      - .offset:         8
        .size:           4
        .value_kind:     by_value
    .group_segment_fixed_size: 65536
    .kernarg_segment_align: 8
    .kernarg_segment_size: 12
    .language:       OpenCL C
    .language_version:
      - 2
      - 0
    .max_flat_workgroup_size: 256
    .name:           _Z20warp_exchange_kernelILj256ELj16ELj16EN6common18BlockedToStripedOpEoEvPT3_j
    .private_segment_fixed_size: 0
    .sgpr_count:     18
    .sgpr_spill_count: 0
    .symbol:         _Z20warp_exchange_kernelILj256ELj16ELj16EN6common18BlockedToStripedOpEoEvPT3_j.kd
    .uniform_work_group_size: 1
    .uses_dynamic_stack: false
    .vgpr_count:     68
    .vgpr_spill_count: 0
    .wavefront_size: 32
    .workgroup_processor_mode: 1
  - .args:
      - .address_space:  global
        .offset:         0
        .size:           8
        .value_kind:     global_buffer
      - .offset:         8
        .size:           4
        .value_kind:     by_value
    .group_segment_fixed_size: 65536
    .kernarg_segment_align: 8
    .kernarg_segment_size: 12
    .language:       OpenCL C
    .language_version:
      - 2
      - 0
    .max_flat_workgroup_size: 256
    .name:           _Z20warp_exchange_kernelILj256ELj16ELj32EN6common18BlockedToStripedOpEoEvPT3_j
    .private_segment_fixed_size: 0
    .sgpr_count:     18
    .sgpr_spill_count: 0
    .symbol:         _Z20warp_exchange_kernelILj256ELj16ELj32EN6common18BlockedToStripedOpEoEvPT3_j.kd
    .uniform_work_group_size: 1
    .uses_dynamic_stack: false
    .vgpr_count:     68
    .vgpr_spill_count: 0
    .wavefront_size: 32
    .workgroup_processor_mode: 1
  - .args:
      - .address_space:  global
        .offset:         0
        .size:           8
        .value_kind:     global_buffer
      - .offset:         8
        .size:           4
        .value_kind:     by_value
    .group_segment_fixed_size: 4096
    .kernarg_segment_align: 8
    .kernarg_segment_size: 12
    .language:       OpenCL C
    .language_version:
      - 2
      - 0
    .max_flat_workgroup_size: 256
    .name:           _Z20warp_exchange_kernelILj256ELj1ELj16EN6common18StripedToBlockedOpEoEvPT3_j
    .private_segment_fixed_size: 0
    .sgpr_count:     18
    .sgpr_spill_count: 0
    .symbol:         _Z20warp_exchange_kernelILj256ELj1ELj16EN6common18StripedToBlockedOpEoEvPT3_j.kd
    .uniform_work_group_size: 1
    .uses_dynamic_stack: false
    .vgpr_count:     7
    .vgpr_spill_count: 0
    .wavefront_size: 32
    .workgroup_processor_mode: 1
  - .args:
      - .address_space:  global
        .offset:         0
        .size:           8
        .value_kind:     global_buffer
      - .offset:         8
        .size:           4
        .value_kind:     by_value
    .group_segment_fixed_size: 4096
    .kernarg_segment_align: 8
    .kernarg_segment_size: 12
    .language:       OpenCL C
    .language_version:
      - 2
      - 0
    .max_flat_workgroup_size: 256
    .name:           _Z20warp_exchange_kernelILj256ELj1ELj32EN6common18StripedToBlockedOpEoEvPT3_j
    .private_segment_fixed_size: 0
    .sgpr_count:     18
    .sgpr_spill_count: 0
    .symbol:         _Z20warp_exchange_kernelILj256ELj1ELj32EN6common18StripedToBlockedOpEoEvPT3_j.kd
    .uniform_work_group_size: 1
    .uses_dynamic_stack: false
    .vgpr_count:     7
    .vgpr_spill_count: 0
    .wavefront_size: 32
    .workgroup_processor_mode: 1
  - .args:
      - .address_space:  global
        .offset:         0
        .size:           8
        .value_kind:     global_buffer
      - .offset:         8
        .size:           4
        .value_kind:     by_value
    .group_segment_fixed_size: 16384
    .kernarg_segment_align: 8
    .kernarg_segment_size: 12
    .language:       OpenCL C
    .language_version:
      - 2
      - 0
    .max_flat_workgroup_size: 256
    .name:           _Z20warp_exchange_kernelILj256ELj4ELj16EN6common18StripedToBlockedOpEoEvPT3_j
    .private_segment_fixed_size: 0
    .sgpr_count:     18
    .sgpr_spill_count: 0
    .symbol:         _Z20warp_exchange_kernelILj256ELj4ELj16EN6common18StripedToBlockedOpEoEvPT3_j.kd
    .uniform_work_group_size: 1
    .uses_dynamic_stack: false
    .vgpr_count:     20
    .vgpr_spill_count: 0
    .wavefront_size: 32
    .workgroup_processor_mode: 1
  - .args:
      - .address_space:  global
        .offset:         0
        .size:           8
        .value_kind:     global_buffer
      - .offset:         8
        .size:           4
        .value_kind:     by_value
    .group_segment_fixed_size: 16384
    .kernarg_segment_align: 8
    .kernarg_segment_size: 12
    .language:       OpenCL C
    .language_version:
      - 2
      - 0
    .max_flat_workgroup_size: 256
    .name:           _Z20warp_exchange_kernelILj256ELj4ELj32EN6common18StripedToBlockedOpEoEvPT3_j
    .private_segment_fixed_size: 0
    .sgpr_count:     18
    .sgpr_spill_count: 0
    .symbol:         _Z20warp_exchange_kernelILj256ELj4ELj32EN6common18StripedToBlockedOpEoEvPT3_j.kd
    .uniform_work_group_size: 1
    .uses_dynamic_stack: false
    .vgpr_count:     20
    .vgpr_spill_count: 0
    .wavefront_size: 32
    .workgroup_processor_mode: 1
  - .args:
      - .address_space:  global
        .offset:         0
        .size:           8
        .value_kind:     global_buffer
      - .offset:         8
        .size:           4
        .value_kind:     by_value
    .group_segment_fixed_size: 65536
    .kernarg_segment_align: 8
    .kernarg_segment_size: 12
    .language:       OpenCL C
    .language_version:
      - 2
      - 0
    .max_flat_workgroup_size: 256
    .name:           _Z20warp_exchange_kernelILj256ELj16ELj16EN6common18StripedToBlockedOpEoEvPT3_j
    .private_segment_fixed_size: 0
    .sgpr_count:     18
    .sgpr_spill_count: 0
    .symbol:         _Z20warp_exchange_kernelILj256ELj16ELj16EN6common18StripedToBlockedOpEoEvPT3_j.kd
    .uniform_work_group_size: 1
    .uses_dynamic_stack: false
    .vgpr_count:     68
    .vgpr_spill_count: 0
    .wavefront_size: 32
    .workgroup_processor_mode: 1
  - .args:
      - .address_space:  global
        .offset:         0
        .size:           8
        .value_kind:     global_buffer
      - .offset:         8
        .size:           4
        .value_kind:     by_value
    .group_segment_fixed_size: 65536
    .kernarg_segment_align: 8
    .kernarg_segment_size: 12
    .language:       OpenCL C
    .language_version:
      - 2
      - 0
    .max_flat_workgroup_size: 256
    .name:           _Z20warp_exchange_kernelILj256ELj16ELj32EN6common18StripedToBlockedOpEoEvPT3_j
    .private_segment_fixed_size: 0
    .sgpr_count:     18
    .sgpr_spill_count: 0
    .symbol:         _Z20warp_exchange_kernelILj256ELj16ELj32EN6common18StripedToBlockedOpEoEvPT3_j.kd
    .uniform_work_group_size: 1
    .uses_dynamic_stack: false
    .vgpr_count:     68
    .vgpr_spill_count: 0
    .wavefront_size: 32
    .workgroup_processor_mode: 1
  - .args:
      - .address_space:  global
        .offset:         0
        .size:           8
        .value_kind:     global_buffer
      - .offset:         8
        .size:           4
        .value_kind:     by_value
    .group_segment_fixed_size: 0
    .kernarg_segment_align: 8
    .kernarg_segment_size: 12
    .language:       OpenCL C
    .language_version:
      - 2
      - 0
    .max_flat_workgroup_size: 256
    .name:           _Z20warp_exchange_kernelILj256ELj1ELj16EN6common25BlockedToStripedShuffleOpEoEvPT3_j
    .private_segment_fixed_size: 0
    .sgpr_count:     18
    .sgpr_spill_count: 0
    .symbol:         _Z20warp_exchange_kernelILj256ELj1ELj16EN6common25BlockedToStripedShuffleOpEoEvPT3_j.kd
    .uniform_work_group_size: 1
    .uses_dynamic_stack: false
    .vgpr_count:     7
    .vgpr_spill_count: 0
    .wavefront_size: 32
    .workgroup_processor_mode: 1
  - .args:
      - .address_space:  global
        .offset:         0
        .size:           8
        .value_kind:     global_buffer
      - .offset:         8
        .size:           4
        .value_kind:     by_value
    .group_segment_fixed_size: 0
    .kernarg_segment_align: 8
    .kernarg_segment_size: 12
    .language:       OpenCL C
    .language_version:
      - 2
      - 0
    .max_flat_workgroup_size: 256
    .name:           _Z20warp_exchange_kernelILj256ELj1ELj32EN6common25BlockedToStripedShuffleOpEoEvPT3_j
    .private_segment_fixed_size: 0
    .sgpr_count:     18
    .sgpr_spill_count: 0
    .symbol:         _Z20warp_exchange_kernelILj256ELj1ELj32EN6common25BlockedToStripedShuffleOpEoEvPT3_j.kd
    .uniform_work_group_size: 1
    .uses_dynamic_stack: false
    .vgpr_count:     7
    .vgpr_spill_count: 0
    .wavefront_size: 32
    .workgroup_processor_mode: 1
  - .args:
      - .address_space:  global
        .offset:         0
        .size:           8
        .value_kind:     global_buffer
      - .offset:         8
        .size:           4
        .value_kind:     by_value
    .group_segment_fixed_size: 0
    .kernarg_segment_align: 8
    .kernarg_segment_size: 12
    .language:       OpenCL C
    .language_version:
      - 2
      - 0
    .max_flat_workgroup_size: 256
    .name:           _Z20warp_exchange_kernelILj256ELj4ELj16EN6common25BlockedToStripedShuffleOpEoEvPT3_j
    .private_segment_fixed_size: 0
    .sgpr_count:     29
    .sgpr_spill_count: 0
    .symbol:         _Z20warp_exchange_kernelILj256ELj4ELj16EN6common25BlockedToStripedShuffleOpEoEvPT3_j.kd
    .uniform_work_group_size: 1
    .uses_dynamic_stack: false
    .vgpr_count:     36
    .vgpr_spill_count: 0
    .wavefront_size: 32
    .workgroup_processor_mode: 1
  - .args:
      - .address_space:  global
        .offset:         0
        .size:           8
        .value_kind:     global_buffer
      - .offset:         8
        .size:           4
        .value_kind:     by_value
    .group_segment_fixed_size: 0
    .kernarg_segment_align: 8
    .kernarg_segment_size: 12
    .language:       OpenCL C
    .language_version:
      - 2
      - 0
    .max_flat_workgroup_size: 256
    .name:           _Z20warp_exchange_kernelILj256ELj4ELj32EN6common25BlockedToStripedShuffleOpEoEvPT3_j
    .private_segment_fixed_size: 0
    .sgpr_count:     18
    .sgpr_spill_count: 0
    .symbol:         _Z20warp_exchange_kernelILj256ELj4ELj32EN6common25BlockedToStripedShuffleOpEoEvPT3_j.kd
    .uniform_work_group_size: 1
    .uses_dynamic_stack: false
    .vgpr_count:     37
    .vgpr_spill_count: 0
    .wavefront_size: 32
    .workgroup_processor_mode: 1
  - .args:
      - .address_space:  global
        .offset:         0
        .size:           8
        .value_kind:     global_buffer
      - .offset:         8
        .size:           4
        .value_kind:     by_value
    .group_segment_fixed_size: 0
    .kernarg_segment_align: 8
    .kernarg_segment_size: 12
    .language:       OpenCL C
    .language_version:
      - 2
      - 0
    .max_flat_workgroup_size: 256
    .name:           _Z20warp_exchange_kernelILj256ELj16ELj16EN6common25BlockedToStripedShuffleOpEoEvPT3_j
    .private_segment_fixed_size: 272
    .sgpr_count:     18
    .sgpr_spill_count: 0
    .symbol:         _Z20warp_exchange_kernelILj256ELj16ELj16EN6common25BlockedToStripedShuffleOpEoEvPT3_j.kd
    .uniform_work_group_size: 1
    .uses_dynamic_stack: false
    .vgpr_count:     101
    .vgpr_spill_count: 0
    .wavefront_size: 32
    .workgroup_processor_mode: 1
  - .args:
      - .address_space:  global
        .offset:         0
        .size:           8
        .value_kind:     global_buffer
      - .offset:         8
        .size:           4
        .value_kind:     by_value
    .group_segment_fixed_size: 0
    .kernarg_segment_align: 8
    .kernarg_segment_size: 12
    .language:       OpenCL C
    .language_version:
      - 2
      - 0
    .max_flat_workgroup_size: 256
    .name:           _Z20warp_exchange_kernelILj256ELj16ELj32EN6common25BlockedToStripedShuffleOpEoEvPT3_j
    .private_segment_fixed_size: 528
    .sgpr_count:     18
    .sgpr_spill_count: 0
    .symbol:         _Z20warp_exchange_kernelILj256ELj16ELj32EN6common25BlockedToStripedShuffleOpEoEvPT3_j.kd
    .uniform_work_group_size: 1
    .uses_dynamic_stack: false
    .vgpr_count:     101
    .vgpr_spill_count: 0
    .wavefront_size: 32
    .workgroup_processor_mode: 1
  - .args:
      - .address_space:  global
        .offset:         0
        .size:           8
        .value_kind:     global_buffer
      - .offset:         8
        .size:           4
        .value_kind:     by_value
    .group_segment_fixed_size: 0
    .kernarg_segment_align: 8
    .kernarg_segment_size: 12
    .language:       OpenCL C
    .language_version:
      - 2
      - 0
    .max_flat_workgroup_size: 256
    .name:           _Z20warp_exchange_kernelILj256ELj1ELj16EN6common25StripedToBlockedShuffleOpEoEvPT3_j
    .private_segment_fixed_size: 0
    .sgpr_count:     18
    .sgpr_spill_count: 0
    .symbol:         _Z20warp_exchange_kernelILj256ELj1ELj16EN6common25StripedToBlockedShuffleOpEoEvPT3_j.kd
    .uniform_work_group_size: 1
    .uses_dynamic_stack: false
    .vgpr_count:     7
    .vgpr_spill_count: 0
    .wavefront_size: 32
    .workgroup_processor_mode: 1
  - .args:
      - .address_space:  global
        .offset:         0
        .size:           8
        .value_kind:     global_buffer
      - .offset:         8
        .size:           4
        .value_kind:     by_value
    .group_segment_fixed_size: 0
    .kernarg_segment_align: 8
    .kernarg_segment_size: 12
    .language:       OpenCL C
    .language_version:
      - 2
      - 0
    .max_flat_workgroup_size: 256
    .name:           _Z20warp_exchange_kernelILj256ELj1ELj32EN6common25StripedToBlockedShuffleOpEoEvPT3_j
    .private_segment_fixed_size: 0
    .sgpr_count:     18
    .sgpr_spill_count: 0
    .symbol:         _Z20warp_exchange_kernelILj256ELj1ELj32EN6common25StripedToBlockedShuffleOpEoEvPT3_j.kd
    .uniform_work_group_size: 1
    .uses_dynamic_stack: false
    .vgpr_count:     7
    .vgpr_spill_count: 0
    .wavefront_size: 32
    .workgroup_processor_mode: 1
  - .args:
      - .address_space:  global
        .offset:         0
        .size:           8
        .value_kind:     global_buffer
      - .offset:         8
        .size:           4
        .value_kind:     by_value
    .group_segment_fixed_size: 16384
    .kernarg_segment_align: 8
    .kernarg_segment_size: 12
    .language:       OpenCL C
    .language_version:
      - 2
      - 0
    .max_flat_workgroup_size: 256
    .name:           _Z20warp_exchange_kernelILj256ELj4ELj16EN6common25StripedToBlockedShuffleOpEoEvPT3_j
    .private_segment_fixed_size: 80
    .sgpr_count:     18
    .sgpr_spill_count: 0
    .symbol:         _Z20warp_exchange_kernelILj256ELj4ELj16EN6common25StripedToBlockedShuffleOpEoEvPT3_j.kd
    .uniform_work_group_size: 1
    .uses_dynamic_stack: false
    .vgpr_count:     42
    .vgpr_spill_count: 0
    .wavefront_size: 32
    .workgroup_processor_mode: 1
  - .args:
      - .address_space:  global
        .offset:         0
        .size:           8
        .value_kind:     global_buffer
      - .offset:         8
        .size:           4
        .value_kind:     by_value
    .group_segment_fixed_size: 0
    .kernarg_segment_align: 8
    .kernarg_segment_size: 12
    .language:       OpenCL C
    .language_version:
      - 2
      - 0
    .max_flat_workgroup_size: 256
    .name:           _Z20warp_exchange_kernelILj256ELj4ELj32EN6common25StripedToBlockedShuffleOpEoEvPT3_j
    .private_segment_fixed_size: 0
    .sgpr_count:     18
    .sgpr_spill_count: 0
    .symbol:         _Z20warp_exchange_kernelILj256ELj4ELj32EN6common25StripedToBlockedShuffleOpEoEvPT3_j.kd
    .uniform_work_group_size: 1
    .uses_dynamic_stack: false
    .vgpr_count:     37
    .vgpr_spill_count: 0
    .wavefront_size: 32
    .workgroup_processor_mode: 1
  - .args:
      - .address_space:  global
        .offset:         0
        .size:           8
        .value_kind:     global_buffer
      - .offset:         8
        .size:           4
        .value_kind:     by_value
    .group_segment_fixed_size: 0
    .kernarg_segment_align: 8
    .kernarg_segment_size: 12
    .language:       OpenCL C
    .language_version:
      - 2
      - 0
    .max_flat_workgroup_size: 256
    .name:           _Z20warp_exchange_kernelILj256ELj16ELj16EN6common25StripedToBlockedShuffleOpEoEvPT3_j
    .private_segment_fixed_size: 272
    .sgpr_count:     18
    .sgpr_spill_count: 0
    .symbol:         _Z20warp_exchange_kernelILj256ELj16ELj16EN6common25StripedToBlockedShuffleOpEoEvPT3_j.kd
    .uniform_work_group_size: 1
    .uses_dynamic_stack: false
    .vgpr_count:     101
    .vgpr_spill_count: 0
    .wavefront_size: 32
    .workgroup_processor_mode: 1
  - .args:
      - .address_space:  global
        .offset:         0
        .size:           8
        .value_kind:     global_buffer
      - .offset:         8
        .size:           4
        .value_kind:     by_value
    .group_segment_fixed_size: 0
    .kernarg_segment_align: 8
    .kernarg_segment_size: 12
    .language:       OpenCL C
    .language_version:
      - 2
      - 0
    .max_flat_workgroup_size: 256
    .name:           _Z20warp_exchange_kernelILj256ELj16ELj32EN6common25StripedToBlockedShuffleOpEoEvPT3_j
    .private_segment_fixed_size: 528
    .sgpr_count:     18
    .sgpr_spill_count: 0
    .symbol:         _Z20warp_exchange_kernelILj256ELj16ELj32EN6common25StripedToBlockedShuffleOpEoEvPT3_j.kd
    .uniform_work_group_size: 1
    .uses_dynamic_stack: false
    .vgpr_count:     114
    .vgpr_spill_count: 0
    .wavefront_size: 32
    .workgroup_processor_mode: 1
  - .args:
      - .address_space:  global
        .offset:         0
        .size:           8
        .value_kind:     global_buffer
      - .offset:         8
        .size:           4
        .value_kind:     by_value
    .group_segment_fixed_size: 4096
    .kernarg_segment_align: 8
    .kernarg_segment_size: 12
    .language:       OpenCL C
    .language_version:
      - 2
      - 0
    .max_flat_workgroup_size: 256
    .name:           _Z20warp_exchange_kernelILj256ELj1ELj16E18ScatterToStripedOpoEvPT3_j
    .private_segment_fixed_size: 0
    .sgpr_count:     18
    .sgpr_spill_count: 0
    .symbol:         _Z20warp_exchange_kernelILj256ELj1ELj16E18ScatterToStripedOpoEvPT3_j.kd
    .uniform_work_group_size: 1
    .uses_dynamic_stack: false
    .vgpr_count:     8
    .vgpr_spill_count: 0
    .wavefront_size: 32
    .workgroup_processor_mode: 1
  - .args:
      - .address_space:  global
        .offset:         0
        .size:           8
        .value_kind:     global_buffer
      - .offset:         8
        .size:           4
        .value_kind:     by_value
    .group_segment_fixed_size: 4096
    .kernarg_segment_align: 8
    .kernarg_segment_size: 12
    .language:       OpenCL C
    .language_version:
      - 2
      - 0
    .max_flat_workgroup_size: 256
    .name:           _Z20warp_exchange_kernelILj256ELj1ELj32E18ScatterToStripedOpoEvPT3_j
    .private_segment_fixed_size: 0
    .sgpr_count:     18
    .sgpr_spill_count: 0
    .symbol:         _Z20warp_exchange_kernelILj256ELj1ELj32E18ScatterToStripedOpoEvPT3_j.kd
    .uniform_work_group_size: 1
    .uses_dynamic_stack: false
    .vgpr_count:     8
    .vgpr_spill_count: 0
    .wavefront_size: 32
    .workgroup_processor_mode: 1
  - .args:
      - .address_space:  global
        .offset:         0
        .size:           8
        .value_kind:     global_buffer
      - .offset:         8
        .size:           4
        .value_kind:     by_value
    .group_segment_fixed_size: 16384
    .kernarg_segment_align: 8
    .kernarg_segment_size: 12
    .language:       OpenCL C
    .language_version:
      - 2
      - 0
    .max_flat_workgroup_size: 256
    .name:           _Z20warp_exchange_kernelILj256ELj4ELj16E18ScatterToStripedOpoEvPT3_j
    .private_segment_fixed_size: 0
    .sgpr_count:     18
    .sgpr_spill_count: 0
    .symbol:         _Z20warp_exchange_kernelILj256ELj4ELj16E18ScatterToStripedOpoEvPT3_j.kd
    .uniform_work_group_size: 1
    .uses_dynamic_stack: false
    .vgpr_count:     21
    .vgpr_spill_count: 0
    .wavefront_size: 32
    .workgroup_processor_mode: 1
  - .args:
      - .address_space:  global
        .offset:         0
        .size:           8
        .value_kind:     global_buffer
      - .offset:         8
        .size:           4
        .value_kind:     by_value
    .group_segment_fixed_size: 16384
    .kernarg_segment_align: 8
    .kernarg_segment_size: 12
    .language:       OpenCL C
    .language_version:
      - 2
      - 0
    .max_flat_workgroup_size: 256
    .name:           _Z20warp_exchange_kernelILj256ELj4ELj32E18ScatterToStripedOpoEvPT3_j
    .private_segment_fixed_size: 0
    .sgpr_count:     18
    .sgpr_spill_count: 0
    .symbol:         _Z20warp_exchange_kernelILj256ELj4ELj32E18ScatterToStripedOpoEvPT3_j.kd
    .uniform_work_group_size: 1
    .uses_dynamic_stack: false
    .vgpr_count:     21
    .vgpr_spill_count: 0
    .wavefront_size: 32
    .workgroup_processor_mode: 1
  - .args:
      - .address_space:  global
        .offset:         0
        .size:           8
        .value_kind:     global_buffer
      - .offset:         8
        .size:           4
        .value_kind:     by_value
    .group_segment_fixed_size: 65536
    .kernarg_segment_align: 8
    .kernarg_segment_size: 12
    .language:       OpenCL C
    .language_version:
      - 2
      - 0
    .max_flat_workgroup_size: 256
    .name:           _Z20warp_exchange_kernelILj256ELj16ELj16E18ScatterToStripedOpoEvPT3_j
    .private_segment_fixed_size: 0
    .sgpr_count:     18
    .sgpr_spill_count: 0
    .symbol:         _Z20warp_exchange_kernelILj256ELj16ELj16E18ScatterToStripedOpoEvPT3_j.kd
    .uniform_work_group_size: 1
    .uses_dynamic_stack: false
    .vgpr_count:     69
    .vgpr_spill_count: 0
    .wavefront_size: 32
    .workgroup_processor_mode: 1
  - .args:
      - .address_space:  global
        .offset:         0
        .size:           8
        .value_kind:     global_buffer
      - .offset:         8
        .size:           4
        .value_kind:     by_value
    .group_segment_fixed_size: 65536
    .kernarg_segment_align: 8
    .kernarg_segment_size: 12
    .language:       OpenCL C
    .language_version:
      - 2
      - 0
    .max_flat_workgroup_size: 256
    .name:           _Z20warp_exchange_kernelILj256ELj16ELj32E18ScatterToStripedOpoEvPT3_j
    .private_segment_fixed_size: 0
    .sgpr_count:     18
    .sgpr_spill_count: 0
    .symbol:         _Z20warp_exchange_kernelILj256ELj16ELj32E18ScatterToStripedOpoEvPT3_j.kd
    .uniform_work_group_size: 1
    .uses_dynamic_stack: false
    .vgpr_count:     69
    .vgpr_spill_count: 0
    .wavefront_size: 32
    .workgroup_processor_mode: 1
  - .args:
      - .address_space:  global
        .offset:         0
        .size:           8
        .value_kind:     global_buffer
      - .offset:         8
        .size:           4
        .value_kind:     by_value
    .group_segment_fixed_size: 0
    .kernarg_segment_align: 8
    .kernarg_segment_size: 12
    .language:       OpenCL C
    .language_version:
      - 2
      - 0
    .max_flat_workgroup_size: 256
    .name:           _Z20warp_exchange_kernelILj256ELj1ELj64EN6common18BlockedToStripedOpEiEvPT3_j
    .private_segment_fixed_size: 0
    .sgpr_count:     0
    .sgpr_spill_count: 0
    .symbol:         _Z20warp_exchange_kernelILj256ELj1ELj64EN6common18BlockedToStripedOpEiEvPT3_j.kd
    .uniform_work_group_size: 1
    .uses_dynamic_stack: false
    .vgpr_count:     0
    .vgpr_spill_count: 0
    .wavefront_size: 32
    .workgroup_processor_mode: 1
  - .args:
      - .address_space:  global
        .offset:         0
        .size:           8
        .value_kind:     global_buffer
      - .offset:         8
        .size:           4
        .value_kind:     by_value
    .group_segment_fixed_size: 0
    .kernarg_segment_align: 8
    .kernarg_segment_size: 12
    .language:       OpenCL C
    .language_version:
      - 2
      - 0
    .max_flat_workgroup_size: 256
    .name:           _Z20warp_exchange_kernelILj256ELj4ELj64EN6common18BlockedToStripedOpEiEvPT3_j
    .private_segment_fixed_size: 0
    .sgpr_count:     0
    .sgpr_spill_count: 0
    .symbol:         _Z20warp_exchange_kernelILj256ELj4ELj64EN6common18BlockedToStripedOpEiEvPT3_j.kd
    .uniform_work_group_size: 1
    .uses_dynamic_stack: false
    .vgpr_count:     0
    .vgpr_spill_count: 0
    .wavefront_size: 32
    .workgroup_processor_mode: 1
  - .args:
      - .address_space:  global
        .offset:         0
        .size:           8
        .value_kind:     global_buffer
      - .offset:         8
        .size:           4
        .value_kind:     by_value
    .group_segment_fixed_size: 0
    .kernarg_segment_align: 8
    .kernarg_segment_size: 12
    .language:       OpenCL C
    .language_version:
      - 2
      - 0
    .max_flat_workgroup_size: 256
    .name:           _Z20warp_exchange_kernelILj256ELj16ELj64EN6common18BlockedToStripedOpEiEvPT3_j
    .private_segment_fixed_size: 0
    .sgpr_count:     0
    .sgpr_spill_count: 0
    .symbol:         _Z20warp_exchange_kernelILj256ELj16ELj64EN6common18BlockedToStripedOpEiEvPT3_j.kd
    .uniform_work_group_size: 1
    .uses_dynamic_stack: false
    .vgpr_count:     0
    .vgpr_spill_count: 0
    .wavefront_size: 32
    .workgroup_processor_mode: 1
  - .args:
      - .address_space:  global
        .offset:         0
        .size:           8
        .value_kind:     global_buffer
      - .offset:         8
        .size:           4
        .value_kind:     by_value
    .group_segment_fixed_size: 0
    .kernarg_segment_align: 8
    .kernarg_segment_size: 12
    .language:       OpenCL C
    .language_version:
      - 2
      - 0
    .max_flat_workgroup_size: 256
    .name:           _Z20warp_exchange_kernelILj256ELj64ELj64EN6common18BlockedToStripedOpEiEvPT3_j
    .private_segment_fixed_size: 0
    .sgpr_count:     0
    .sgpr_spill_count: 0
    .symbol:         _Z20warp_exchange_kernelILj256ELj64ELj64EN6common18BlockedToStripedOpEiEvPT3_j.kd
    .uniform_work_group_size: 1
    .uses_dynamic_stack: false
    .vgpr_count:     0
    .vgpr_spill_count: 0
    .wavefront_size: 32
    .workgroup_processor_mode: 1
  - .args:
      - .address_space:  global
        .offset:         0
        .size:           8
        .value_kind:     global_buffer
      - .offset:         8
        .size:           4
        .value_kind:     by_value
    .group_segment_fixed_size: 0
    .kernarg_segment_align: 8
    .kernarg_segment_size: 12
    .language:       OpenCL C
    .language_version:
      - 2
      - 0
    .max_flat_workgroup_size: 256
    .name:           _Z20warp_exchange_kernelILj256ELj1ELj64EN6common18StripedToBlockedOpEiEvPT3_j
    .private_segment_fixed_size: 0
    .sgpr_count:     0
    .sgpr_spill_count: 0
    .symbol:         _Z20warp_exchange_kernelILj256ELj1ELj64EN6common18StripedToBlockedOpEiEvPT3_j.kd
    .uniform_work_group_size: 1
    .uses_dynamic_stack: false
    .vgpr_count:     0
    .vgpr_spill_count: 0
    .wavefront_size: 32
    .workgroup_processor_mode: 1
  - .args:
      - .address_space:  global
        .offset:         0
        .size:           8
        .value_kind:     global_buffer
      - .offset:         8
        .size:           4
        .value_kind:     by_value
    .group_segment_fixed_size: 0
    .kernarg_segment_align: 8
    .kernarg_segment_size: 12
    .language:       OpenCL C
    .language_version:
      - 2
      - 0
    .max_flat_workgroup_size: 256
    .name:           _Z20warp_exchange_kernelILj256ELj4ELj64EN6common18StripedToBlockedOpEiEvPT3_j
    .private_segment_fixed_size: 0
    .sgpr_count:     0
    .sgpr_spill_count: 0
    .symbol:         _Z20warp_exchange_kernelILj256ELj4ELj64EN6common18StripedToBlockedOpEiEvPT3_j.kd
    .uniform_work_group_size: 1
    .uses_dynamic_stack: false
    .vgpr_count:     0
    .vgpr_spill_count: 0
    .wavefront_size: 32
    .workgroup_processor_mode: 1
  - .args:
      - .address_space:  global
        .offset:         0
        .size:           8
        .value_kind:     global_buffer
      - .offset:         8
        .size:           4
        .value_kind:     by_value
    .group_segment_fixed_size: 0
    .kernarg_segment_align: 8
    .kernarg_segment_size: 12
    .language:       OpenCL C
    .language_version:
      - 2
      - 0
    .max_flat_workgroup_size: 256
    .name:           _Z20warp_exchange_kernelILj256ELj16ELj64EN6common18StripedToBlockedOpEiEvPT3_j
    .private_segment_fixed_size: 0
    .sgpr_count:     0
    .sgpr_spill_count: 0
    .symbol:         _Z20warp_exchange_kernelILj256ELj16ELj64EN6common18StripedToBlockedOpEiEvPT3_j.kd
    .uniform_work_group_size: 1
    .uses_dynamic_stack: false
    .vgpr_count:     0
    .vgpr_spill_count: 0
    .wavefront_size: 32
    .workgroup_processor_mode: 1
  - .args:
      - .address_space:  global
        .offset:         0
        .size:           8
        .value_kind:     global_buffer
      - .offset:         8
        .size:           4
        .value_kind:     by_value
    .group_segment_fixed_size: 0
    .kernarg_segment_align: 8
    .kernarg_segment_size: 12
    .language:       OpenCL C
    .language_version:
      - 2
      - 0
    .max_flat_workgroup_size: 256
    .name:           _Z20warp_exchange_kernelILj256ELj64ELj64EN6common18StripedToBlockedOpEiEvPT3_j
    .private_segment_fixed_size: 0
    .sgpr_count:     0
    .sgpr_spill_count: 0
    .symbol:         _Z20warp_exchange_kernelILj256ELj64ELj64EN6common18StripedToBlockedOpEiEvPT3_j.kd
    .uniform_work_group_size: 1
    .uses_dynamic_stack: false
    .vgpr_count:     0
    .vgpr_spill_count: 0
    .wavefront_size: 32
    .workgroup_processor_mode: 1
  - .args:
      - .address_space:  global
        .offset:         0
        .size:           8
        .value_kind:     global_buffer
      - .offset:         8
        .size:           4
        .value_kind:     by_value
    .group_segment_fixed_size: 0
    .kernarg_segment_align: 8
    .kernarg_segment_size: 12
    .language:       OpenCL C
    .language_version:
      - 2
      - 0
    .max_flat_workgroup_size: 256
    .name:           _Z20warp_exchange_kernelILj256ELj1ELj64EN6common25BlockedToStripedShuffleOpEiEvPT3_j
    .private_segment_fixed_size: 0
    .sgpr_count:     0
    .sgpr_spill_count: 0
    .symbol:         _Z20warp_exchange_kernelILj256ELj1ELj64EN6common25BlockedToStripedShuffleOpEiEvPT3_j.kd
    .uniform_work_group_size: 1
    .uses_dynamic_stack: false
    .vgpr_count:     0
    .vgpr_spill_count: 0
    .wavefront_size: 32
    .workgroup_processor_mode: 1
  - .args:
      - .address_space:  global
        .offset:         0
        .size:           8
        .value_kind:     global_buffer
      - .offset:         8
        .size:           4
        .value_kind:     by_value
    .group_segment_fixed_size: 0
    .kernarg_segment_align: 8
    .kernarg_segment_size: 12
    .language:       OpenCL C
    .language_version:
      - 2
      - 0
    .max_flat_workgroup_size: 256
    .name:           _Z20warp_exchange_kernelILj256ELj4ELj64EN6common25BlockedToStripedShuffleOpEiEvPT3_j
    .private_segment_fixed_size: 0
    .sgpr_count:     0
    .sgpr_spill_count: 0
    .symbol:         _Z20warp_exchange_kernelILj256ELj4ELj64EN6common25BlockedToStripedShuffleOpEiEvPT3_j.kd
    .uniform_work_group_size: 1
    .uses_dynamic_stack: false
    .vgpr_count:     0
    .vgpr_spill_count: 0
    .wavefront_size: 32
    .workgroup_processor_mode: 1
  - .args:
      - .address_space:  global
        .offset:         0
        .size:           8
        .value_kind:     global_buffer
      - .offset:         8
        .size:           4
        .value_kind:     by_value
    .group_segment_fixed_size: 0
    .kernarg_segment_align: 8
    .kernarg_segment_size: 12
    .language:       OpenCL C
    .language_version:
      - 2
      - 0
    .max_flat_workgroup_size: 256
    .name:           _Z20warp_exchange_kernelILj256ELj16ELj64EN6common25BlockedToStripedShuffleOpEiEvPT3_j
    .private_segment_fixed_size: 0
    .sgpr_count:     0
    .sgpr_spill_count: 0
    .symbol:         _Z20warp_exchange_kernelILj256ELj16ELj64EN6common25BlockedToStripedShuffleOpEiEvPT3_j.kd
    .uniform_work_group_size: 1
    .uses_dynamic_stack: false
    .vgpr_count:     0
    .vgpr_spill_count: 0
    .wavefront_size: 32
    .workgroup_processor_mode: 1
  - .args:
      - .address_space:  global
        .offset:         0
        .size:           8
        .value_kind:     global_buffer
      - .offset:         8
        .size:           4
        .value_kind:     by_value
    .group_segment_fixed_size: 0
    .kernarg_segment_align: 8
    .kernarg_segment_size: 12
    .language:       OpenCL C
    .language_version:
      - 2
      - 0
    .max_flat_workgroup_size: 256
    .name:           _Z20warp_exchange_kernelILj256ELj64ELj64EN6common25BlockedToStripedShuffleOpEiEvPT3_j
    .private_segment_fixed_size: 0
    .sgpr_count:     0
    .sgpr_spill_count: 0
    .symbol:         _Z20warp_exchange_kernelILj256ELj64ELj64EN6common25BlockedToStripedShuffleOpEiEvPT3_j.kd
    .uniform_work_group_size: 1
    .uses_dynamic_stack: false
    .vgpr_count:     0
    .vgpr_spill_count: 0
    .wavefront_size: 32
    .workgroup_processor_mode: 1
  - .args:
      - .address_space:  global
        .offset:         0
        .size:           8
        .value_kind:     global_buffer
      - .offset:         8
        .size:           4
        .value_kind:     by_value
    .group_segment_fixed_size: 0
    .kernarg_segment_align: 8
    .kernarg_segment_size: 12
    .language:       OpenCL C
    .language_version:
      - 2
      - 0
    .max_flat_workgroup_size: 256
    .name:           _Z20warp_exchange_kernelILj256ELj1ELj64EN6common25StripedToBlockedShuffleOpEiEvPT3_j
    .private_segment_fixed_size: 0
    .sgpr_count:     0
    .sgpr_spill_count: 0
    .symbol:         _Z20warp_exchange_kernelILj256ELj1ELj64EN6common25StripedToBlockedShuffleOpEiEvPT3_j.kd
    .uniform_work_group_size: 1
    .uses_dynamic_stack: false
    .vgpr_count:     0
    .vgpr_spill_count: 0
    .wavefront_size: 32
    .workgroup_processor_mode: 1
  - .args:
      - .address_space:  global
        .offset:         0
        .size:           8
        .value_kind:     global_buffer
      - .offset:         8
        .size:           4
        .value_kind:     by_value
    .group_segment_fixed_size: 0
    .kernarg_segment_align: 8
    .kernarg_segment_size: 12
    .language:       OpenCL C
    .language_version:
      - 2
      - 0
    .max_flat_workgroup_size: 256
    .name:           _Z20warp_exchange_kernelILj256ELj4ELj64EN6common25StripedToBlockedShuffleOpEiEvPT3_j
    .private_segment_fixed_size: 0
    .sgpr_count:     0
    .sgpr_spill_count: 0
    .symbol:         _Z20warp_exchange_kernelILj256ELj4ELj64EN6common25StripedToBlockedShuffleOpEiEvPT3_j.kd
    .uniform_work_group_size: 1
    .uses_dynamic_stack: false
    .vgpr_count:     0
    .vgpr_spill_count: 0
    .wavefront_size: 32
    .workgroup_processor_mode: 1
  - .args:
      - .address_space:  global
        .offset:         0
        .size:           8
        .value_kind:     global_buffer
      - .offset:         8
        .size:           4
        .value_kind:     by_value
    .group_segment_fixed_size: 0
    .kernarg_segment_align: 8
    .kernarg_segment_size: 12
    .language:       OpenCL C
    .language_version:
      - 2
      - 0
    .max_flat_workgroup_size: 256
    .name:           _Z20warp_exchange_kernelILj256ELj16ELj64EN6common25StripedToBlockedShuffleOpEiEvPT3_j
    .private_segment_fixed_size: 0
    .sgpr_count:     0
    .sgpr_spill_count: 0
    .symbol:         _Z20warp_exchange_kernelILj256ELj16ELj64EN6common25StripedToBlockedShuffleOpEiEvPT3_j.kd
    .uniform_work_group_size: 1
    .uses_dynamic_stack: false
    .vgpr_count:     0
    .vgpr_spill_count: 0
    .wavefront_size: 32
    .workgroup_processor_mode: 1
  - .args:
      - .address_space:  global
        .offset:         0
        .size:           8
        .value_kind:     global_buffer
      - .offset:         8
        .size:           4
        .value_kind:     by_value
    .group_segment_fixed_size: 0
    .kernarg_segment_align: 8
    .kernarg_segment_size: 12
    .language:       OpenCL C
    .language_version:
      - 2
      - 0
    .max_flat_workgroup_size: 256
    .name:           _Z20warp_exchange_kernelILj256ELj64ELj64EN6common25StripedToBlockedShuffleOpEiEvPT3_j
    .private_segment_fixed_size: 0
    .sgpr_count:     0
    .sgpr_spill_count: 0
    .symbol:         _Z20warp_exchange_kernelILj256ELj64ELj64EN6common25StripedToBlockedShuffleOpEiEvPT3_j.kd
    .uniform_work_group_size: 1
    .uses_dynamic_stack: false
    .vgpr_count:     0
    .vgpr_spill_count: 0
    .wavefront_size: 32
    .workgroup_processor_mode: 1
  - .args:
      - .address_space:  global
        .offset:         0
        .size:           8
        .value_kind:     global_buffer
      - .offset:         8
        .size:           4
        .value_kind:     by_value
    .group_segment_fixed_size: 0
    .kernarg_segment_align: 8
    .kernarg_segment_size: 12
    .language:       OpenCL C
    .language_version:
      - 2
      - 0
    .max_flat_workgroup_size: 256
    .name:           _Z20warp_exchange_kernelILj256ELj1ELj64E18ScatterToStripedOpiEvPT3_j
    .private_segment_fixed_size: 0
    .sgpr_count:     0
    .sgpr_spill_count: 0
    .symbol:         _Z20warp_exchange_kernelILj256ELj1ELj64E18ScatterToStripedOpiEvPT3_j.kd
    .uniform_work_group_size: 1
    .uses_dynamic_stack: false
    .vgpr_count:     0
    .vgpr_spill_count: 0
    .wavefront_size: 32
    .workgroup_processor_mode: 1
  - .args:
      - .address_space:  global
        .offset:         0
        .size:           8
        .value_kind:     global_buffer
      - .offset:         8
        .size:           4
        .value_kind:     by_value
    .group_segment_fixed_size: 0
    .kernarg_segment_align: 8
    .kernarg_segment_size: 12
    .language:       OpenCL C
    .language_version:
      - 2
      - 0
    .max_flat_workgroup_size: 256
    .name:           _Z20warp_exchange_kernelILj256ELj4ELj64E18ScatterToStripedOpiEvPT3_j
    .private_segment_fixed_size: 0
    .sgpr_count:     0
    .sgpr_spill_count: 0
    .symbol:         _Z20warp_exchange_kernelILj256ELj4ELj64E18ScatterToStripedOpiEvPT3_j.kd
    .uniform_work_group_size: 1
    .uses_dynamic_stack: false
    .vgpr_count:     0
    .vgpr_spill_count: 0
    .wavefront_size: 32
    .workgroup_processor_mode: 1
  - .args:
      - .address_space:  global
        .offset:         0
        .size:           8
        .value_kind:     global_buffer
      - .offset:         8
        .size:           4
        .value_kind:     by_value
    .group_segment_fixed_size: 0
    .kernarg_segment_align: 8
    .kernarg_segment_size: 12
    .language:       OpenCL C
    .language_version:
      - 2
      - 0
    .max_flat_workgroup_size: 256
    .name:           _Z20warp_exchange_kernelILj256ELj16ELj64E18ScatterToStripedOpiEvPT3_j
    .private_segment_fixed_size: 0
    .sgpr_count:     0
    .sgpr_spill_count: 0
    .symbol:         _Z20warp_exchange_kernelILj256ELj16ELj64E18ScatterToStripedOpiEvPT3_j.kd
    .uniform_work_group_size: 1
    .uses_dynamic_stack: false
    .vgpr_count:     0
    .vgpr_spill_count: 0
    .wavefront_size: 32
    .workgroup_processor_mode: 1
  - .args:
      - .address_space:  global
        .offset:         0
        .size:           8
        .value_kind:     global_buffer
      - .offset:         8
        .size:           4
        .value_kind:     by_value
    .group_segment_fixed_size: 0
    .kernarg_segment_align: 8
    .kernarg_segment_size: 12
    .language:       OpenCL C
    .language_version:
      - 2
      - 0
    .max_flat_workgroup_size: 256
    .name:           _Z20warp_exchange_kernelILj256ELj1ELj64EN6common18BlockedToStripedOpEnEvPT3_j
    .private_segment_fixed_size: 0
    .sgpr_count:     0
    .sgpr_spill_count: 0
    .symbol:         _Z20warp_exchange_kernelILj256ELj1ELj64EN6common18BlockedToStripedOpEnEvPT3_j.kd
    .uniform_work_group_size: 1
    .uses_dynamic_stack: false
    .vgpr_count:     0
    .vgpr_spill_count: 0
    .wavefront_size: 32
    .workgroup_processor_mode: 1
  - .args:
      - .address_space:  global
        .offset:         0
        .size:           8
        .value_kind:     global_buffer
      - .offset:         8
        .size:           4
        .value_kind:     by_value
    .group_segment_fixed_size: 0
    .kernarg_segment_align: 8
    .kernarg_segment_size: 12
    .language:       OpenCL C
    .language_version:
      - 2
      - 0
    .max_flat_workgroup_size: 256
    .name:           _Z20warp_exchange_kernelILj256ELj4ELj64EN6common18BlockedToStripedOpEnEvPT3_j
    .private_segment_fixed_size: 0
    .sgpr_count:     0
    .sgpr_spill_count: 0
    .symbol:         _Z20warp_exchange_kernelILj256ELj4ELj64EN6common18BlockedToStripedOpEnEvPT3_j.kd
    .uniform_work_group_size: 1
    .uses_dynamic_stack: false
    .vgpr_count:     0
    .vgpr_spill_count: 0
    .wavefront_size: 32
    .workgroup_processor_mode: 1
  - .args:
      - .address_space:  global
        .offset:         0
        .size:           8
        .value_kind:     global_buffer
      - .offset:         8
        .size:           4
        .value_kind:     by_value
    .group_segment_fixed_size: 0
    .kernarg_segment_align: 8
    .kernarg_segment_size: 12
    .language:       OpenCL C
    .language_version:
      - 2
      - 0
    .max_flat_workgroup_size: 256
    .name:           _Z20warp_exchange_kernelILj256ELj16ELj64EN6common18BlockedToStripedOpEnEvPT3_j
    .private_segment_fixed_size: 0
    .sgpr_count:     0
    .sgpr_spill_count: 0
    .symbol:         _Z20warp_exchange_kernelILj256ELj16ELj64EN6common18BlockedToStripedOpEnEvPT3_j.kd
    .uniform_work_group_size: 1
    .uses_dynamic_stack: false
    .vgpr_count:     0
    .vgpr_spill_count: 0
    .wavefront_size: 32
    .workgroup_processor_mode: 1
  - .args:
      - .address_space:  global
        .offset:         0
        .size:           8
        .value_kind:     global_buffer
      - .offset:         8
        .size:           4
        .value_kind:     by_value
    .group_segment_fixed_size: 0
    .kernarg_segment_align: 8
    .kernarg_segment_size: 12
    .language:       OpenCL C
    .language_version:
      - 2
      - 0
    .max_flat_workgroup_size: 256
    .name:           _Z20warp_exchange_kernelILj256ELj1ELj64EN6common18StripedToBlockedOpEnEvPT3_j
    .private_segment_fixed_size: 0
    .sgpr_count:     0
    .sgpr_spill_count: 0
    .symbol:         _Z20warp_exchange_kernelILj256ELj1ELj64EN6common18StripedToBlockedOpEnEvPT3_j.kd
    .uniform_work_group_size: 1
    .uses_dynamic_stack: false
    .vgpr_count:     0
    .vgpr_spill_count: 0
    .wavefront_size: 32
    .workgroup_processor_mode: 1
  - .args:
      - .address_space:  global
        .offset:         0
        .size:           8
        .value_kind:     global_buffer
      - .offset:         8
        .size:           4
        .value_kind:     by_value
    .group_segment_fixed_size: 0
    .kernarg_segment_align: 8
    .kernarg_segment_size: 12
    .language:       OpenCL C
    .language_version:
      - 2
      - 0
    .max_flat_workgroup_size: 256
    .name:           _Z20warp_exchange_kernelILj256ELj4ELj64EN6common18StripedToBlockedOpEnEvPT3_j
    .private_segment_fixed_size: 0
    .sgpr_count:     0
    .sgpr_spill_count: 0
    .symbol:         _Z20warp_exchange_kernelILj256ELj4ELj64EN6common18StripedToBlockedOpEnEvPT3_j.kd
    .uniform_work_group_size: 1
    .uses_dynamic_stack: false
    .vgpr_count:     0
    .vgpr_spill_count: 0
    .wavefront_size: 32
    .workgroup_processor_mode: 1
  - .args:
      - .address_space:  global
        .offset:         0
        .size:           8
        .value_kind:     global_buffer
      - .offset:         8
        .size:           4
        .value_kind:     by_value
    .group_segment_fixed_size: 0
    .kernarg_segment_align: 8
    .kernarg_segment_size: 12
    .language:       OpenCL C
    .language_version:
      - 2
      - 0
    .max_flat_workgroup_size: 256
    .name:           _Z20warp_exchange_kernelILj256ELj16ELj64EN6common18StripedToBlockedOpEnEvPT3_j
    .private_segment_fixed_size: 0
    .sgpr_count:     0
    .sgpr_spill_count: 0
    .symbol:         _Z20warp_exchange_kernelILj256ELj16ELj64EN6common18StripedToBlockedOpEnEvPT3_j.kd
    .uniform_work_group_size: 1
    .uses_dynamic_stack: false
    .vgpr_count:     0
    .vgpr_spill_count: 0
    .wavefront_size: 32
    .workgroup_processor_mode: 1
  - .args:
      - .address_space:  global
        .offset:         0
        .size:           8
        .value_kind:     global_buffer
      - .offset:         8
        .size:           4
        .value_kind:     by_value
    .group_segment_fixed_size: 0
    .kernarg_segment_align: 8
    .kernarg_segment_size: 12
    .language:       OpenCL C
    .language_version:
      - 2
      - 0
    .max_flat_workgroup_size: 256
    .name:           _Z20warp_exchange_kernelILj256ELj1ELj64EN6common25BlockedToStripedShuffleOpEnEvPT3_j
    .private_segment_fixed_size: 0
    .sgpr_count:     0
    .sgpr_spill_count: 0
    .symbol:         _Z20warp_exchange_kernelILj256ELj1ELj64EN6common25BlockedToStripedShuffleOpEnEvPT3_j.kd
    .uniform_work_group_size: 1
    .uses_dynamic_stack: false
    .vgpr_count:     0
    .vgpr_spill_count: 0
    .wavefront_size: 32
    .workgroup_processor_mode: 1
  - .args:
      - .address_space:  global
        .offset:         0
        .size:           8
        .value_kind:     global_buffer
      - .offset:         8
        .size:           4
        .value_kind:     by_value
    .group_segment_fixed_size: 0
    .kernarg_segment_align: 8
    .kernarg_segment_size: 12
    .language:       OpenCL C
    .language_version:
      - 2
      - 0
    .max_flat_workgroup_size: 256
    .name:           _Z20warp_exchange_kernelILj256ELj4ELj64EN6common25BlockedToStripedShuffleOpEnEvPT3_j
    .private_segment_fixed_size: 0
    .sgpr_count:     0
    .sgpr_spill_count: 0
    .symbol:         _Z20warp_exchange_kernelILj256ELj4ELj64EN6common25BlockedToStripedShuffleOpEnEvPT3_j.kd
    .uniform_work_group_size: 1
    .uses_dynamic_stack: false
    .vgpr_count:     0
    .vgpr_spill_count: 0
    .wavefront_size: 32
    .workgroup_processor_mode: 1
  - .args:
      - .address_space:  global
        .offset:         0
        .size:           8
        .value_kind:     global_buffer
      - .offset:         8
        .size:           4
        .value_kind:     by_value
    .group_segment_fixed_size: 0
    .kernarg_segment_align: 8
    .kernarg_segment_size: 12
    .language:       OpenCL C
    .language_version:
      - 2
      - 0
    .max_flat_workgroup_size: 256
    .name:           _Z20warp_exchange_kernelILj256ELj16ELj64EN6common25BlockedToStripedShuffleOpEnEvPT3_j
    .private_segment_fixed_size: 0
    .sgpr_count:     0
    .sgpr_spill_count: 0
    .symbol:         _Z20warp_exchange_kernelILj256ELj16ELj64EN6common25BlockedToStripedShuffleOpEnEvPT3_j.kd
    .uniform_work_group_size: 1
    .uses_dynamic_stack: false
    .vgpr_count:     0
    .vgpr_spill_count: 0
    .wavefront_size: 32
    .workgroup_processor_mode: 1
  - .args:
      - .address_space:  global
        .offset:         0
        .size:           8
        .value_kind:     global_buffer
      - .offset:         8
        .size:           4
        .value_kind:     by_value
    .group_segment_fixed_size: 0
    .kernarg_segment_align: 8
    .kernarg_segment_size: 12
    .language:       OpenCL C
    .language_version:
      - 2
      - 0
    .max_flat_workgroup_size: 256
    .name:           _Z20warp_exchange_kernelILj256ELj1ELj64EN6common25StripedToBlockedShuffleOpEnEvPT3_j
    .private_segment_fixed_size: 0
    .sgpr_count:     0
    .sgpr_spill_count: 0
    .symbol:         _Z20warp_exchange_kernelILj256ELj1ELj64EN6common25StripedToBlockedShuffleOpEnEvPT3_j.kd
    .uniform_work_group_size: 1
    .uses_dynamic_stack: false
    .vgpr_count:     0
    .vgpr_spill_count: 0
    .wavefront_size: 32
    .workgroup_processor_mode: 1
  - .args:
      - .address_space:  global
        .offset:         0
        .size:           8
        .value_kind:     global_buffer
      - .offset:         8
        .size:           4
        .value_kind:     by_value
    .group_segment_fixed_size: 0
    .kernarg_segment_align: 8
    .kernarg_segment_size: 12
    .language:       OpenCL C
    .language_version:
      - 2
      - 0
    .max_flat_workgroup_size: 256
    .name:           _Z20warp_exchange_kernelILj256ELj4ELj64EN6common25StripedToBlockedShuffleOpEnEvPT3_j
    .private_segment_fixed_size: 0
    .sgpr_count:     0
    .sgpr_spill_count: 0
    .symbol:         _Z20warp_exchange_kernelILj256ELj4ELj64EN6common25StripedToBlockedShuffleOpEnEvPT3_j.kd
    .uniform_work_group_size: 1
    .uses_dynamic_stack: false
    .vgpr_count:     0
    .vgpr_spill_count: 0
    .wavefront_size: 32
    .workgroup_processor_mode: 1
  - .args:
      - .address_space:  global
        .offset:         0
        .size:           8
        .value_kind:     global_buffer
      - .offset:         8
        .size:           4
        .value_kind:     by_value
    .group_segment_fixed_size: 0
    .kernarg_segment_align: 8
    .kernarg_segment_size: 12
    .language:       OpenCL C
    .language_version:
      - 2
      - 0
    .max_flat_workgroup_size: 256
    .name:           _Z20warp_exchange_kernelILj256ELj16ELj64EN6common25StripedToBlockedShuffleOpEnEvPT3_j
    .private_segment_fixed_size: 0
    .sgpr_count:     0
    .sgpr_spill_count: 0
    .symbol:         _Z20warp_exchange_kernelILj256ELj16ELj64EN6common25StripedToBlockedShuffleOpEnEvPT3_j.kd
    .uniform_work_group_size: 1
    .uses_dynamic_stack: false
    .vgpr_count:     0
    .vgpr_spill_count: 0
    .wavefront_size: 32
    .workgroup_processor_mode: 1
  - .args:
      - .address_space:  global
        .offset:         0
        .size:           8
        .value_kind:     global_buffer
      - .offset:         8
        .size:           4
        .value_kind:     by_value
    .group_segment_fixed_size: 0
    .kernarg_segment_align: 8
    .kernarg_segment_size: 12
    .language:       OpenCL C
    .language_version:
      - 2
      - 0
    .max_flat_workgroup_size: 256
    .name:           _Z20warp_exchange_kernelILj256ELj1ELj64E18ScatterToStripedOpnEvPT3_j
    .private_segment_fixed_size: 0
    .sgpr_count:     0
    .sgpr_spill_count: 0
    .symbol:         _Z20warp_exchange_kernelILj256ELj1ELj64E18ScatterToStripedOpnEvPT3_j.kd
    .uniform_work_group_size: 1
    .uses_dynamic_stack: false
    .vgpr_count:     0
    .vgpr_spill_count: 0
    .wavefront_size: 32
    .workgroup_processor_mode: 1
  - .args:
      - .address_space:  global
        .offset:         0
        .size:           8
        .value_kind:     global_buffer
      - .offset:         8
        .size:           4
        .value_kind:     by_value
    .group_segment_fixed_size: 0
    .kernarg_segment_align: 8
    .kernarg_segment_size: 12
    .language:       OpenCL C
    .language_version:
      - 2
      - 0
    .max_flat_workgroup_size: 256
    .name:           _Z20warp_exchange_kernelILj256ELj4ELj64E18ScatterToStripedOpnEvPT3_j
    .private_segment_fixed_size: 0
    .sgpr_count:     0
    .sgpr_spill_count: 0
    .symbol:         _Z20warp_exchange_kernelILj256ELj4ELj64E18ScatterToStripedOpnEvPT3_j.kd
    .uniform_work_group_size: 1
    .uses_dynamic_stack: false
    .vgpr_count:     0
    .vgpr_spill_count: 0
    .wavefront_size: 32
    .workgroup_processor_mode: 1
  - .args:
      - .address_space:  global
        .offset:         0
        .size:           8
        .value_kind:     global_buffer
      - .offset:         8
        .size:           4
        .value_kind:     by_value
    .group_segment_fixed_size: 0
    .kernarg_segment_align: 8
    .kernarg_segment_size: 12
    .language:       OpenCL C
    .language_version:
      - 2
      - 0
    .max_flat_workgroup_size: 256
    .name:           _Z20warp_exchange_kernelILj256ELj16ELj64E18ScatterToStripedOpnEvPT3_j
    .private_segment_fixed_size: 0
    .sgpr_count:     0
    .sgpr_spill_count: 0
    .symbol:         _Z20warp_exchange_kernelILj256ELj16ELj64E18ScatterToStripedOpnEvPT3_j.kd
    .uniform_work_group_size: 1
    .uses_dynamic_stack: false
    .vgpr_count:     0
    .vgpr_spill_count: 0
    .wavefront_size: 32
    .workgroup_processor_mode: 1
  - .args:
      - .address_space:  global
        .offset:         0
        .size:           8
        .value_kind:     global_buffer
      - .offset:         8
        .size:           4
        .value_kind:     by_value
    .group_segment_fixed_size: 0
    .kernarg_segment_align: 8
    .kernarg_segment_size: 12
    .language:       OpenCL C
    .language_version:
      - 2
      - 0
    .max_flat_workgroup_size: 256
    .name:           _Z20warp_exchange_kernelILj256ELj1ELj64EN6common18BlockedToStripedOpEoEvPT3_j
    .private_segment_fixed_size: 0
    .sgpr_count:     0
    .sgpr_spill_count: 0
    .symbol:         _Z20warp_exchange_kernelILj256ELj1ELj64EN6common18BlockedToStripedOpEoEvPT3_j.kd
    .uniform_work_group_size: 1
    .uses_dynamic_stack: false
    .vgpr_count:     0
    .vgpr_spill_count: 0
    .wavefront_size: 32
    .workgroup_processor_mode: 1
  - .args:
      - .address_space:  global
        .offset:         0
        .size:           8
        .value_kind:     global_buffer
      - .offset:         8
        .size:           4
        .value_kind:     by_value
    .group_segment_fixed_size: 0
    .kernarg_segment_align: 8
    .kernarg_segment_size: 12
    .language:       OpenCL C
    .language_version:
      - 2
      - 0
    .max_flat_workgroup_size: 256
    .name:           _Z20warp_exchange_kernelILj256ELj4ELj64EN6common18BlockedToStripedOpEoEvPT3_j
    .private_segment_fixed_size: 0
    .sgpr_count:     0
    .sgpr_spill_count: 0
    .symbol:         _Z20warp_exchange_kernelILj256ELj4ELj64EN6common18BlockedToStripedOpEoEvPT3_j.kd
    .uniform_work_group_size: 1
    .uses_dynamic_stack: false
    .vgpr_count:     0
    .vgpr_spill_count: 0
    .wavefront_size: 32
    .workgroup_processor_mode: 1
  - .args:
      - .address_space:  global
        .offset:         0
        .size:           8
        .value_kind:     global_buffer
      - .offset:         8
        .size:           4
        .value_kind:     by_value
    .group_segment_fixed_size: 0
    .kernarg_segment_align: 8
    .kernarg_segment_size: 12
    .language:       OpenCL C
    .language_version:
      - 2
      - 0
    .max_flat_workgroup_size: 256
    .name:           _Z20warp_exchange_kernelILj256ELj16ELj64EN6common18BlockedToStripedOpEoEvPT3_j
    .private_segment_fixed_size: 0
    .sgpr_count:     0
    .sgpr_spill_count: 0
    .symbol:         _Z20warp_exchange_kernelILj256ELj16ELj64EN6common18BlockedToStripedOpEoEvPT3_j.kd
    .uniform_work_group_size: 1
    .uses_dynamic_stack: false
    .vgpr_count:     0
    .vgpr_spill_count: 0
    .wavefront_size: 32
    .workgroup_processor_mode: 1
  - .args:
      - .address_space:  global
        .offset:         0
        .size:           8
        .value_kind:     global_buffer
      - .offset:         8
        .size:           4
        .value_kind:     by_value
    .group_segment_fixed_size: 0
    .kernarg_segment_align: 8
    .kernarg_segment_size: 12
    .language:       OpenCL C
    .language_version:
      - 2
      - 0
    .max_flat_workgroup_size: 256
    .name:           _Z20warp_exchange_kernelILj256ELj1ELj64EN6common18StripedToBlockedOpEoEvPT3_j
    .private_segment_fixed_size: 0
    .sgpr_count:     0
    .sgpr_spill_count: 0
    .symbol:         _Z20warp_exchange_kernelILj256ELj1ELj64EN6common18StripedToBlockedOpEoEvPT3_j.kd
    .uniform_work_group_size: 1
    .uses_dynamic_stack: false
    .vgpr_count:     0
    .vgpr_spill_count: 0
    .wavefront_size: 32
    .workgroup_processor_mode: 1
  - .args:
      - .address_space:  global
        .offset:         0
        .size:           8
        .value_kind:     global_buffer
      - .offset:         8
        .size:           4
        .value_kind:     by_value
    .group_segment_fixed_size: 0
    .kernarg_segment_align: 8
    .kernarg_segment_size: 12
    .language:       OpenCL C
    .language_version:
      - 2
      - 0
    .max_flat_workgroup_size: 256
    .name:           _Z20warp_exchange_kernelILj256ELj4ELj64EN6common18StripedToBlockedOpEoEvPT3_j
    .private_segment_fixed_size: 0
    .sgpr_count:     0
    .sgpr_spill_count: 0
    .symbol:         _Z20warp_exchange_kernelILj256ELj4ELj64EN6common18StripedToBlockedOpEoEvPT3_j.kd
    .uniform_work_group_size: 1
    .uses_dynamic_stack: false
    .vgpr_count:     0
    .vgpr_spill_count: 0
    .wavefront_size: 32
    .workgroup_processor_mode: 1
  - .args:
      - .address_space:  global
        .offset:         0
        .size:           8
        .value_kind:     global_buffer
      - .offset:         8
        .size:           4
        .value_kind:     by_value
    .group_segment_fixed_size: 0
    .kernarg_segment_align: 8
    .kernarg_segment_size: 12
    .language:       OpenCL C
    .language_version:
      - 2
      - 0
    .max_flat_workgroup_size: 256
    .name:           _Z20warp_exchange_kernelILj256ELj16ELj64EN6common18StripedToBlockedOpEoEvPT3_j
    .private_segment_fixed_size: 0
    .sgpr_count:     0
    .sgpr_spill_count: 0
    .symbol:         _Z20warp_exchange_kernelILj256ELj16ELj64EN6common18StripedToBlockedOpEoEvPT3_j.kd
    .uniform_work_group_size: 1
    .uses_dynamic_stack: false
    .vgpr_count:     0
    .vgpr_spill_count: 0
    .wavefront_size: 32
    .workgroup_processor_mode: 1
  - .args:
      - .address_space:  global
        .offset:         0
        .size:           8
        .value_kind:     global_buffer
      - .offset:         8
        .size:           4
        .value_kind:     by_value
    .group_segment_fixed_size: 0
    .kernarg_segment_align: 8
    .kernarg_segment_size: 12
    .language:       OpenCL C
    .language_version:
      - 2
      - 0
    .max_flat_workgroup_size: 256
    .name:           _Z20warp_exchange_kernelILj256ELj1ELj64EN6common25BlockedToStripedShuffleOpEoEvPT3_j
    .private_segment_fixed_size: 0
    .sgpr_count:     0
    .sgpr_spill_count: 0
    .symbol:         _Z20warp_exchange_kernelILj256ELj1ELj64EN6common25BlockedToStripedShuffleOpEoEvPT3_j.kd
    .uniform_work_group_size: 1
    .uses_dynamic_stack: false
    .vgpr_count:     0
    .vgpr_spill_count: 0
    .wavefront_size: 32
    .workgroup_processor_mode: 1
  - .args:
      - .address_space:  global
        .offset:         0
        .size:           8
        .value_kind:     global_buffer
      - .offset:         8
        .size:           4
        .value_kind:     by_value
    .group_segment_fixed_size: 0
    .kernarg_segment_align: 8
    .kernarg_segment_size: 12
    .language:       OpenCL C
    .language_version:
      - 2
      - 0
    .max_flat_workgroup_size: 256
    .name:           _Z20warp_exchange_kernelILj256ELj4ELj64EN6common25BlockedToStripedShuffleOpEoEvPT3_j
    .private_segment_fixed_size: 0
    .sgpr_count:     0
    .sgpr_spill_count: 0
    .symbol:         _Z20warp_exchange_kernelILj256ELj4ELj64EN6common25BlockedToStripedShuffleOpEoEvPT3_j.kd
    .uniform_work_group_size: 1
    .uses_dynamic_stack: false
    .vgpr_count:     0
    .vgpr_spill_count: 0
    .wavefront_size: 32
    .workgroup_processor_mode: 1
  - .args:
      - .address_space:  global
        .offset:         0
        .size:           8
        .value_kind:     global_buffer
      - .offset:         8
        .size:           4
        .value_kind:     by_value
    .group_segment_fixed_size: 0
    .kernarg_segment_align: 8
    .kernarg_segment_size: 12
    .language:       OpenCL C
    .language_version:
      - 2
      - 0
    .max_flat_workgroup_size: 256
    .name:           _Z20warp_exchange_kernelILj256ELj16ELj64EN6common25BlockedToStripedShuffleOpEoEvPT3_j
    .private_segment_fixed_size: 0
    .sgpr_count:     0
    .sgpr_spill_count: 0
    .symbol:         _Z20warp_exchange_kernelILj256ELj16ELj64EN6common25BlockedToStripedShuffleOpEoEvPT3_j.kd
    .uniform_work_group_size: 1
    .uses_dynamic_stack: false
    .vgpr_count:     0
    .vgpr_spill_count: 0
    .wavefront_size: 32
    .workgroup_processor_mode: 1
  - .args:
      - .address_space:  global
        .offset:         0
        .size:           8
        .value_kind:     global_buffer
      - .offset:         8
        .size:           4
        .value_kind:     by_value
    .group_segment_fixed_size: 0
    .kernarg_segment_align: 8
    .kernarg_segment_size: 12
    .language:       OpenCL C
    .language_version:
      - 2
      - 0
    .max_flat_workgroup_size: 256
    .name:           _Z20warp_exchange_kernelILj256ELj1ELj64EN6common25StripedToBlockedShuffleOpEoEvPT3_j
    .private_segment_fixed_size: 0
    .sgpr_count:     0
    .sgpr_spill_count: 0
    .symbol:         _Z20warp_exchange_kernelILj256ELj1ELj64EN6common25StripedToBlockedShuffleOpEoEvPT3_j.kd
    .uniform_work_group_size: 1
    .uses_dynamic_stack: false
    .vgpr_count:     0
    .vgpr_spill_count: 0
    .wavefront_size: 32
    .workgroup_processor_mode: 1
  - .args:
      - .address_space:  global
        .offset:         0
        .size:           8
        .value_kind:     global_buffer
      - .offset:         8
        .size:           4
        .value_kind:     by_value
    .group_segment_fixed_size: 0
    .kernarg_segment_align: 8
    .kernarg_segment_size: 12
    .language:       OpenCL C
    .language_version:
      - 2
      - 0
    .max_flat_workgroup_size: 256
    .name:           _Z20warp_exchange_kernelILj256ELj4ELj64EN6common25StripedToBlockedShuffleOpEoEvPT3_j
    .private_segment_fixed_size: 0
    .sgpr_count:     0
    .sgpr_spill_count: 0
    .symbol:         _Z20warp_exchange_kernelILj256ELj4ELj64EN6common25StripedToBlockedShuffleOpEoEvPT3_j.kd
    .uniform_work_group_size: 1
    .uses_dynamic_stack: false
    .vgpr_count:     0
    .vgpr_spill_count: 0
    .wavefront_size: 32
    .workgroup_processor_mode: 1
  - .args:
      - .address_space:  global
        .offset:         0
        .size:           8
        .value_kind:     global_buffer
      - .offset:         8
        .size:           4
        .value_kind:     by_value
    .group_segment_fixed_size: 0
    .kernarg_segment_align: 8
    .kernarg_segment_size: 12
    .language:       OpenCL C
    .language_version:
      - 2
      - 0
    .max_flat_workgroup_size: 256
    .name:           _Z20warp_exchange_kernelILj256ELj16ELj64EN6common25StripedToBlockedShuffleOpEoEvPT3_j
    .private_segment_fixed_size: 0
    .sgpr_count:     0
    .sgpr_spill_count: 0
    .symbol:         _Z20warp_exchange_kernelILj256ELj16ELj64EN6common25StripedToBlockedShuffleOpEoEvPT3_j.kd
    .uniform_work_group_size: 1
    .uses_dynamic_stack: false
    .vgpr_count:     0
    .vgpr_spill_count: 0
    .wavefront_size: 32
    .workgroup_processor_mode: 1
  - .args:
      - .address_space:  global
        .offset:         0
        .size:           8
        .value_kind:     global_buffer
      - .offset:         8
        .size:           4
        .value_kind:     by_value
    .group_segment_fixed_size: 0
    .kernarg_segment_align: 8
    .kernarg_segment_size: 12
    .language:       OpenCL C
    .language_version:
      - 2
      - 0
    .max_flat_workgroup_size: 256
    .name:           _Z20warp_exchange_kernelILj256ELj1ELj64E18ScatterToStripedOpoEvPT3_j
    .private_segment_fixed_size: 0
    .sgpr_count:     0
    .sgpr_spill_count: 0
    .symbol:         _Z20warp_exchange_kernelILj256ELj1ELj64E18ScatterToStripedOpoEvPT3_j.kd
    .uniform_work_group_size: 1
    .uses_dynamic_stack: false
    .vgpr_count:     0
    .vgpr_spill_count: 0
    .wavefront_size: 32
    .workgroup_processor_mode: 1
  - .args:
      - .address_space:  global
        .offset:         0
        .size:           8
        .value_kind:     global_buffer
      - .offset:         8
        .size:           4
        .value_kind:     by_value
    .group_segment_fixed_size: 0
    .kernarg_segment_align: 8
    .kernarg_segment_size: 12
    .language:       OpenCL C
    .language_version:
      - 2
      - 0
    .max_flat_workgroup_size: 256
    .name:           _Z20warp_exchange_kernelILj256ELj4ELj64E18ScatterToStripedOpoEvPT3_j
    .private_segment_fixed_size: 0
    .sgpr_count:     0
    .sgpr_spill_count: 0
    .symbol:         _Z20warp_exchange_kernelILj256ELj4ELj64E18ScatterToStripedOpoEvPT3_j.kd
    .uniform_work_group_size: 1
    .uses_dynamic_stack: false
    .vgpr_count:     0
    .vgpr_spill_count: 0
    .wavefront_size: 32
    .workgroup_processor_mode: 1
  - .args:
      - .address_space:  global
        .offset:         0
        .size:           8
        .value_kind:     global_buffer
      - .offset:         8
        .size:           4
        .value_kind:     by_value
    .group_segment_fixed_size: 0
    .kernarg_segment_align: 8
    .kernarg_segment_size: 12
    .language:       OpenCL C
    .language_version:
      - 2
      - 0
    .max_flat_workgroup_size: 256
    .name:           _Z20warp_exchange_kernelILj256ELj16ELj64E18ScatterToStripedOpoEvPT3_j
    .private_segment_fixed_size: 0
    .sgpr_count:     0
    .sgpr_spill_count: 0
    .symbol:         _Z20warp_exchange_kernelILj256ELj16ELj64E18ScatterToStripedOpoEvPT3_j.kd
    .uniform_work_group_size: 1
    .uses_dynamic_stack: false
    .vgpr_count:     0
    .vgpr_spill_count: 0
    .wavefront_size: 32
    .workgroup_processor_mode: 1
amdhsa.target:   amdgcn-amd-amdhsa--gfx1100
amdhsa.version:
  - 1
  - 2
...

	.end_amdgpu_metadata
